;; amdgpu-corpus repo=ROCm/rocFFT kind=compiled arch=gfx1201 opt=O3
	.text
	.amdgcn_target "amdgcn-amd-amdhsa--gfx1201"
	.amdhsa_code_object_version 6
	.protected	fft_rtc_back_len1078_factors_2_11_7_7_wgs_231_tpt_77_halfLds_half_ip_CI_sbrr_dirReg ; -- Begin function fft_rtc_back_len1078_factors_2_11_7_7_wgs_231_tpt_77_halfLds_half_ip_CI_sbrr_dirReg
	.globl	fft_rtc_back_len1078_factors_2_11_7_7_wgs_231_tpt_77_halfLds_half_ip_CI_sbrr_dirReg
	.p2align	8
	.type	fft_rtc_back_len1078_factors_2_11_7_7_wgs_231_tpt_77_halfLds_half_ip_CI_sbrr_dirReg,@function
fft_rtc_back_len1078_factors_2_11_7_7_wgs_231_tpt_77_halfLds_half_ip_CI_sbrr_dirReg: ; @fft_rtc_back_len1078_factors_2_11_7_7_wgs_231_tpt_77_halfLds_half_ip_CI_sbrr_dirReg
; %bb.0:
	s_clause 0x1
	s_load_b64 s[12:13], s[0:1], 0x18
	s_load_b128 s[4:7], s[0:1], 0x0
	v_mul_u32_u24_e32 v1, 0x354, v0
	v_mov_b32_e32 v5, 0
	s_load_b64 s[10:11], s[0:1], 0x50
	s_wait_kmcnt 0x0
	s_load_b64 s[8:9], s[12:13], 0x0
	v_lshrrev_b32_e32 v1, 16, v1
	v_cmp_lt_u64_e64 s2, s[6:7], 2
	s_delay_alu instid0(VALU_DEP_2) | instskip(SKIP_4) | instid1(VALU_DEP_1)
	v_mad_co_u64_u32 v[1:2], null, ttmp9, 3, v[1:2]
	v_mov_b32_e32 v3, 0
	v_mov_b32_e32 v4, 0
	;; [unrolled: 1-line block ×3, first 2 shown]
	s_and_b32 vcc_lo, exec_lo, s2
	v_dual_mov_b32 v10, v2 :: v_dual_mov_b32 v9, v1
	s_cbranch_vccnz .LBB0_8
; %bb.1:
	s_load_b64 s[2:3], s[0:1], 0x10
	v_dual_mov_b32 v3, 0 :: v_dual_mov_b32 v8, v2
	v_dual_mov_b32 v4, 0 :: v_dual_mov_b32 v7, v1
	s_add_nc_u64 s[14:15], s[12:13], 8
	s_mov_b64 s[16:17], 1
	s_wait_kmcnt 0x0
	s_add_nc_u64 s[18:19], s[2:3], 8
	s_mov_b32 s3, 0
.LBB0_2:                                ; =>This Inner Loop Header: Depth=1
	s_load_b64 s[20:21], s[18:19], 0x0
                                        ; implicit-def: $vgpr9_vgpr10
	s_mov_b32 s2, exec_lo
	s_wait_kmcnt 0x0
	v_or_b32_e32 v6, s21, v8
	s_delay_alu instid0(VALU_DEP_1)
	v_cmpx_ne_u64_e32 0, v[5:6]
	s_wait_alu 0xfffe
	s_xor_b32 s22, exec_lo, s2
	s_cbranch_execz .LBB0_4
; %bb.3:                                ;   in Loop: Header=BB0_2 Depth=1
	s_cvt_f32_u32 s2, s20
	s_cvt_f32_u32 s23, s21
	s_sub_nc_u64 s[26:27], 0, s[20:21]
	s_wait_alu 0xfffe
	s_delay_alu instid0(SALU_CYCLE_1) | instskip(SKIP_1) | instid1(SALU_CYCLE_2)
	s_fmamk_f32 s2, s23, 0x4f800000, s2
	s_wait_alu 0xfffe
	v_s_rcp_f32 s2, s2
	s_delay_alu instid0(TRANS32_DEP_1) | instskip(SKIP_1) | instid1(SALU_CYCLE_2)
	s_mul_f32 s2, s2, 0x5f7ffffc
	s_wait_alu 0xfffe
	s_mul_f32 s23, s2, 0x2f800000
	s_wait_alu 0xfffe
	s_delay_alu instid0(SALU_CYCLE_2) | instskip(SKIP_1) | instid1(SALU_CYCLE_2)
	s_trunc_f32 s23, s23
	s_wait_alu 0xfffe
	s_fmamk_f32 s2, s23, 0xcf800000, s2
	s_cvt_u32_f32 s25, s23
	s_wait_alu 0xfffe
	s_delay_alu instid0(SALU_CYCLE_1) | instskip(SKIP_1) | instid1(SALU_CYCLE_2)
	s_cvt_u32_f32 s24, s2
	s_wait_alu 0xfffe
	s_mul_u64 s[28:29], s[26:27], s[24:25]
	s_wait_alu 0xfffe
	s_mul_hi_u32 s31, s24, s29
	s_mul_i32 s30, s24, s29
	s_mul_hi_u32 s2, s24, s28
	s_mul_i32 s33, s25, s28
	s_wait_alu 0xfffe
	s_add_nc_u64 s[30:31], s[2:3], s[30:31]
	s_mul_hi_u32 s23, s25, s28
	s_mul_hi_u32 s34, s25, s29
	s_add_co_u32 s2, s30, s33
	s_wait_alu 0xfffe
	s_add_co_ci_u32 s2, s31, s23
	s_mul_i32 s28, s25, s29
	s_add_co_ci_u32 s29, s34, 0
	s_wait_alu 0xfffe
	s_add_nc_u64 s[28:29], s[2:3], s[28:29]
	s_wait_alu 0xfffe
	v_add_co_u32 v2, s2, s24, s28
	s_delay_alu instid0(VALU_DEP_1) | instskip(SKIP_1) | instid1(VALU_DEP_1)
	s_cmp_lg_u32 s2, 0
	s_add_co_ci_u32 s25, s25, s29
	v_readfirstlane_b32 s24, v2
	s_wait_alu 0xfffe
	s_delay_alu instid0(VALU_DEP_1)
	s_mul_u64 s[26:27], s[26:27], s[24:25]
	s_wait_alu 0xfffe
	s_mul_hi_u32 s29, s24, s27
	s_mul_i32 s28, s24, s27
	s_mul_hi_u32 s2, s24, s26
	s_mul_i32 s30, s25, s26
	s_wait_alu 0xfffe
	s_add_nc_u64 s[28:29], s[2:3], s[28:29]
	s_mul_hi_u32 s23, s25, s26
	s_mul_hi_u32 s24, s25, s27
	s_wait_alu 0xfffe
	s_add_co_u32 s2, s28, s30
	s_add_co_ci_u32 s2, s29, s23
	s_mul_i32 s26, s25, s27
	s_add_co_ci_u32 s27, s24, 0
	s_wait_alu 0xfffe
	s_add_nc_u64 s[26:27], s[2:3], s[26:27]
	s_wait_alu 0xfffe
	v_add_co_u32 v2, s2, v2, s26
	s_delay_alu instid0(VALU_DEP_1) | instskip(SKIP_1) | instid1(VALU_DEP_1)
	s_cmp_lg_u32 s2, 0
	s_add_co_ci_u32 s2, s25, s27
	v_mul_hi_u32 v6, v7, v2
	s_wait_alu 0xfffe
	v_mad_co_u64_u32 v[9:10], null, v7, s2, 0
	v_mad_co_u64_u32 v[11:12], null, v8, v2, 0
	;; [unrolled: 1-line block ×3, first 2 shown]
	s_delay_alu instid0(VALU_DEP_3) | instskip(SKIP_1) | instid1(VALU_DEP_4)
	v_add_co_u32 v2, vcc_lo, v6, v9
	s_wait_alu 0xfffd
	v_add_co_ci_u32_e32 v6, vcc_lo, 0, v10, vcc_lo
	s_delay_alu instid0(VALU_DEP_2) | instskip(SKIP_1) | instid1(VALU_DEP_2)
	v_add_co_u32 v2, vcc_lo, v2, v11
	s_wait_alu 0xfffd
	v_add_co_ci_u32_e32 v2, vcc_lo, v6, v12, vcc_lo
	s_wait_alu 0xfffd
	v_add_co_ci_u32_e32 v6, vcc_lo, 0, v14, vcc_lo
	s_delay_alu instid0(VALU_DEP_2) | instskip(SKIP_1) | instid1(VALU_DEP_2)
	v_add_co_u32 v2, vcc_lo, v2, v13
	s_wait_alu 0xfffd
	v_add_co_ci_u32_e32 v6, vcc_lo, 0, v6, vcc_lo
	s_delay_alu instid0(VALU_DEP_2) | instskip(SKIP_1) | instid1(VALU_DEP_3)
	v_mul_lo_u32 v11, s21, v2
	v_mad_co_u64_u32 v[9:10], null, s20, v2, 0
	v_mul_lo_u32 v12, s20, v6
	s_delay_alu instid0(VALU_DEP_2) | instskip(NEXT) | instid1(VALU_DEP_2)
	v_sub_co_u32 v9, vcc_lo, v7, v9
	v_add3_u32 v10, v10, v12, v11
	s_delay_alu instid0(VALU_DEP_1) | instskip(SKIP_1) | instid1(VALU_DEP_1)
	v_sub_nc_u32_e32 v11, v8, v10
	s_wait_alu 0xfffd
	v_subrev_co_ci_u32_e64 v11, s2, s21, v11, vcc_lo
	v_add_co_u32 v12, s2, v2, 2
	s_wait_alu 0xf1ff
	v_add_co_ci_u32_e64 v13, s2, 0, v6, s2
	v_sub_co_u32 v14, s2, v9, s20
	v_sub_co_ci_u32_e32 v10, vcc_lo, v8, v10, vcc_lo
	s_wait_alu 0xf1ff
	v_subrev_co_ci_u32_e64 v11, s2, 0, v11, s2
	s_delay_alu instid0(VALU_DEP_3) | instskip(NEXT) | instid1(VALU_DEP_3)
	v_cmp_le_u32_e32 vcc_lo, s20, v14
	v_cmp_eq_u32_e64 s2, s21, v10
	s_wait_alu 0xfffd
	v_cndmask_b32_e64 v14, 0, -1, vcc_lo
	v_cmp_le_u32_e32 vcc_lo, s21, v11
	s_wait_alu 0xfffd
	v_cndmask_b32_e64 v15, 0, -1, vcc_lo
	v_cmp_le_u32_e32 vcc_lo, s20, v9
	;; [unrolled: 3-line block ×3, first 2 shown]
	s_wait_alu 0xfffd
	v_cndmask_b32_e64 v16, 0, -1, vcc_lo
	v_cmp_eq_u32_e32 vcc_lo, s21, v11
	s_wait_alu 0xf1ff
	s_delay_alu instid0(VALU_DEP_2)
	v_cndmask_b32_e64 v9, v16, v9, s2
	s_wait_alu 0xfffd
	v_cndmask_b32_e32 v11, v15, v14, vcc_lo
	v_add_co_u32 v14, vcc_lo, v2, 1
	s_wait_alu 0xfffd
	v_add_co_ci_u32_e32 v15, vcc_lo, 0, v6, vcc_lo
	s_delay_alu instid0(VALU_DEP_3) | instskip(SKIP_1) | instid1(VALU_DEP_2)
	v_cmp_ne_u32_e32 vcc_lo, 0, v11
	s_wait_alu 0xfffd
	v_dual_cndmask_b32 v10, v15, v13 :: v_dual_cndmask_b32 v11, v14, v12
	v_cmp_ne_u32_e32 vcc_lo, 0, v9
	s_wait_alu 0xfffd
	s_delay_alu instid0(VALU_DEP_2) | instskip(NEXT) | instid1(VALU_DEP_3)
	v_cndmask_b32_e32 v10, v6, v10, vcc_lo
	v_cndmask_b32_e32 v9, v2, v11, vcc_lo
.LBB0_4:                                ;   in Loop: Header=BB0_2 Depth=1
	s_wait_alu 0xfffe
	s_and_not1_saveexec_b32 s2, s22
	s_cbranch_execz .LBB0_6
; %bb.5:                                ;   in Loop: Header=BB0_2 Depth=1
	v_cvt_f32_u32_e32 v2, s20
	s_sub_co_i32 s22, 0, s20
	s_delay_alu instid0(VALU_DEP_1) | instskip(NEXT) | instid1(TRANS32_DEP_1)
	v_rcp_iflag_f32_e32 v2, v2
	v_mul_f32_e32 v2, 0x4f7ffffe, v2
	s_delay_alu instid0(VALU_DEP_1) | instskip(SKIP_1) | instid1(VALU_DEP_1)
	v_cvt_u32_f32_e32 v2, v2
	s_wait_alu 0xfffe
	v_mul_lo_u32 v6, s22, v2
	s_delay_alu instid0(VALU_DEP_1) | instskip(NEXT) | instid1(VALU_DEP_1)
	v_mul_hi_u32 v6, v2, v6
	v_add_nc_u32_e32 v2, v2, v6
	s_delay_alu instid0(VALU_DEP_1) | instskip(NEXT) | instid1(VALU_DEP_1)
	v_mul_hi_u32 v2, v7, v2
	v_mul_lo_u32 v6, v2, s20
	v_add_nc_u32_e32 v9, 1, v2
	s_delay_alu instid0(VALU_DEP_2) | instskip(NEXT) | instid1(VALU_DEP_1)
	v_sub_nc_u32_e32 v6, v7, v6
	v_subrev_nc_u32_e32 v10, s20, v6
	v_cmp_le_u32_e32 vcc_lo, s20, v6
	s_wait_alu 0xfffd
	s_delay_alu instid0(VALU_DEP_2) | instskip(SKIP_2) | instid1(VALU_DEP_3)
	v_cndmask_b32_e32 v6, v6, v10, vcc_lo
	v_mov_b32_e32 v10, v5
	v_cndmask_b32_e32 v2, v2, v9, vcc_lo
	v_cmp_le_u32_e32 vcc_lo, s20, v6
	s_delay_alu instid0(VALU_DEP_2) | instskip(SKIP_1) | instid1(VALU_DEP_1)
	v_add_nc_u32_e32 v9, 1, v2
	s_wait_alu 0xfffd
	v_cndmask_b32_e32 v9, v2, v9, vcc_lo
.LBB0_6:                                ;   in Loop: Header=BB0_2 Depth=1
	s_wait_alu 0xfffe
	s_or_b32 exec_lo, exec_lo, s2
	s_load_b64 s[22:23], s[14:15], 0x0
	v_mul_lo_u32 v2, v10, s20
	v_mul_lo_u32 v6, v9, s21
	v_mad_co_u64_u32 v[11:12], null, v9, s20, 0
	s_add_nc_u64 s[16:17], s[16:17], 1
	s_add_nc_u64 s[14:15], s[14:15], 8
	s_wait_alu 0xfffe
	v_cmp_ge_u64_e64 s2, s[16:17], s[6:7]
	s_add_nc_u64 s[18:19], s[18:19], 8
	s_delay_alu instid0(VALU_DEP_2) | instskip(NEXT) | instid1(VALU_DEP_3)
	v_add3_u32 v2, v12, v6, v2
	v_sub_co_u32 v6, vcc_lo, v7, v11
	s_wait_alu 0xfffd
	s_delay_alu instid0(VALU_DEP_2) | instskip(SKIP_3) | instid1(VALU_DEP_2)
	v_sub_co_ci_u32_e32 v2, vcc_lo, v8, v2, vcc_lo
	s_and_b32 vcc_lo, exec_lo, s2
	s_wait_kmcnt 0x0
	v_mul_lo_u32 v7, s23, v6
	v_mul_lo_u32 v2, s22, v2
	v_mad_co_u64_u32 v[3:4], null, s22, v6, v[3:4]
	s_delay_alu instid0(VALU_DEP_1)
	v_add3_u32 v4, v7, v4, v2
	s_wait_alu 0xfffe
	s_cbranch_vccnz .LBB0_8
; %bb.7:                                ;   in Loop: Header=BB0_2 Depth=1
	v_dual_mov_b32 v7, v9 :: v_dual_mov_b32 v8, v10
	s_branch .LBB0_2
.LBB0_8:
	s_lshl_b64 s[2:3], s[6:7], 3
	v_mul_hi_u32 v2, 0x3531ded, v0
	s_wait_alu 0xfffe
	s_add_nc_u64 s[2:3], s[12:13], s[2:3]
	s_load_b64 s[0:1], s[0:1], 0x20
	s_load_b64 s[2:3], s[2:3], 0x0
                                        ; implicit-def: $vgpr30
                                        ; implicit-def: $vgpr34
                                        ; implicit-def: $vgpr36
                                        ; implicit-def: $vgpr35
	s_delay_alu instid0(VALU_DEP_1) | instskip(NEXT) | instid1(VALU_DEP_1)
	v_mul_u32_u24_e32 v2, 0x4d, v2
	v_sub_nc_u32_e32 v23, v0, v2
	s_delay_alu instid0(VALU_DEP_1)
	v_add_nc_u32_e32 v22, 0x4d, v23
	v_add_nc_u32_e32 v24, 0x9a, v23
	;; [unrolled: 1-line block ×4, first 2 shown]
	s_wait_kmcnt 0x0
	v_cmp_gt_u64_e32 vcc_lo, s[0:1], v[9:10]
	v_mul_lo_u32 v0, s2, v10
	v_mul_lo_u32 v5, s3, v9
	v_mad_co_u64_u32 v[2:3], null, s2, v9, v[3:4]
	v_cmp_le_u64_e64 s0, s[0:1], v[9:10]
                                        ; implicit-def: $sgpr2
	s_delay_alu instid0(VALU_DEP_2) | instskip(NEXT) | instid1(VALU_DEP_2)
	v_add3_u32 v3, v5, v3, v0
	s_and_saveexec_b32 s1, s0
	s_wait_alu 0xfffe
	s_xor_b32 s0, exec_lo, s1
; %bb.9:
	v_add_nc_u32_e32 v30, 0x4d, v23
	v_add_nc_u32_e32 v34, 0x9a, v23
	;; [unrolled: 1-line block ×4, first 2 shown]
	s_mov_b32 s2, 0
; %bb.10:
	s_wait_alu 0xfffe
	s_or_saveexec_b32 s1, s0
	v_lshlrev_b64_e32 v[16:17], 2, v[2:3]
	v_dual_mov_b32 v0, s2 :: v_dual_add_nc_u32 v29, 0x268, v23
	v_dual_mov_b32 v2, s2 :: v_dual_add_nc_u32 v27, 0x302, v23
	;; [unrolled: 1-line block ×3, first 2 shown]
	v_dual_mov_b32 v6, s2 :: v_dual_mov_b32 v5, s2
	v_dual_mov_b32 v4, s2 :: v_dual_mov_b32 v3, s2
                                        ; implicit-def: $vgpr12
                                        ; implicit-def: $vgpr13
                                        ; implicit-def: $vgpr15
                                        ; implicit-def: $vgpr18
                                        ; implicit-def: $vgpr8
                                        ; implicit-def: $vgpr19
                                        ; implicit-def: $vgpr9
                                        ; implicit-def: $vgpr20
                                        ; implicit-def: $vgpr10
                                        ; implicit-def: $vgpr21
                                        ; implicit-def: $vgpr11
                                        ; implicit-def: $vgpr31
                                        ; implicit-def: $vgpr14
                                        ; implicit-def: $vgpr32
	s_wait_alu 0xfffe
	s_xor_b32 exec_lo, exec_lo, s1
	s_cbranch_execz .LBB0_12
; %bb.11:
	v_mad_co_u64_u32 v[2:3], null, s8, v23, 0
	v_add_nc_u32_e32 v11, 0x21b, v23
	v_mad_co_u64_u32 v[6:7], null, s8, v22, 0
	v_mad_co_u64_u32 v[14:15], null, s8, v24, 0
	s_delay_alu instid0(VALU_DEP_4) | instskip(NEXT) | instid1(VALU_DEP_4)
	v_dual_mov_b32 v0, v3 :: v_dual_add_nc_u32 v21, 0xe7, v23
	v_mad_co_u64_u32 v[4:5], null, s8, v11, 0
	v_add_co_u32 v38, s0, s10, v16
	s_delay_alu instid0(VALU_DEP_3) | instskip(SKIP_1) | instid1(VALU_DEP_4)
	v_mad_co_u64_u32 v[8:9], null, s9, v23, v[0:1]
	v_mad_co_u64_u32 v[9:10], null, s8, v29, 0
	v_dual_mov_b32 v0, v5 :: v_dual_mov_b32 v5, v7
	s_wait_alu 0xf1ff
	v_add_co_ci_u32_e64 v39, s0, s11, v17, s0
	s_delay_alu instid0(VALU_DEP_4) | instskip(NEXT) | instid1(VALU_DEP_3)
	v_mov_b32_e32 v3, v8
	v_mad_co_u64_u32 v[7:8], null, s9, v11, v[0:1]
	v_mov_b32_e32 v0, v10
	v_mad_co_u64_u32 v[10:11], null, s9, v22, v[5:6]
	s_delay_alu instid0(VALU_DEP_4) | instskip(SKIP_1) | instid1(VALU_DEP_4)
	v_lshlrev_b64_e32 v[2:3], 2, v[2:3]
	v_mad_co_u64_u32 v[30:31], null, s8, v27, 0
	v_mad_co_u64_u32 v[11:12], null, s9, v29, v[0:1]
	v_add_nc_u32_e32 v13, 0x2b5, v23
	v_mov_b32_e32 v5, v7
	v_mov_b32_e32 v7, v10
	v_add_co_u32 v2, s0, v38, v2
	s_wait_alu 0xf1ff
	v_add_co_ci_u32_e64 v3, s0, v39, v3, s0
	v_mov_b32_e32 v10, v11
	v_mad_co_u64_u32 v[11:12], null, s8, v13, 0
	v_add_nc_u32_e32 v32, 0x34f, v23
	v_add_nc_u32_e32 v36, 0x3e9, v23
	s_delay_alu instid0(VALU_DEP_4) | instskip(SKIP_4) | instid1(VALU_DEP_4)
	v_lshlrev_b64_e32 v[8:9], 2, v[9:10]
	v_mov_b32_e32 v10, v15
	v_lshlrev_b64_e32 v[6:7], 2, v[6:7]
	v_mov_b32_e32 v0, v12
	v_lshlrev_b64_e32 v[4:5], 2, v[4:5]
	v_mad_co_u64_u32 v[18:19], null, s9, v24, v[10:11]
	v_mad_co_u64_u32 v[19:20], null, s8, v21, 0
	s_delay_alu instid0(VALU_DEP_4) | instskip(NEXT) | instid1(VALU_DEP_4)
	v_mad_co_u64_u32 v[12:13], null, s9, v13, v[0:1]
	v_add_co_u32 v4, s0, v38, v4
	s_wait_alu 0xf1ff
	v_add_co_ci_u32_e64 v5, s0, v39, v5, s0
	v_add_co_u32 v6, s0, v38, v6
	v_mov_b32_e32 v0, v20
	v_lshlrev_b64_e32 v[10:11], 2, v[11:12]
	s_wait_alu 0xf1ff
	v_add_co_ci_u32_e64 v7, s0, v39, v7, s0
	v_add_co_u32 v8, s0, v38, v8
	s_wait_alu 0xf1ff
	v_add_co_ci_u32_e64 v9, s0, v39, v9, s0
	v_mad_co_u64_u32 v[12:13], null, s9, v21, v[0:1]
	v_mov_b32_e32 v15, v18
	s_clause 0x3
	global_load_b32 v0, v[2:3], off
	global_load_b32 v13, v[4:5], off
	global_load_b32 v2, v[6:7], off
	global_load_b32 v18, v[8:9], off
	v_mov_b32_e32 v5, v31
	v_add_co_u32 v6, s0, v38, v10
	s_wait_alu 0xf1ff
	v_add_co_ci_u32_e64 v7, s0, v39, v11, s0
	v_mov_b32_e32 v20, v12
	s_delay_alu instid0(VALU_DEP_3)
	v_mad_co_u64_u32 v[8:9], null, s9, v27, v[5:6]
	v_lshlrev_b64_e32 v[3:4], 2, v[14:15]
	v_mad_co_u64_u32 v[9:10], null, s8, v25, 0
	v_mad_co_u64_u32 v[14:15], null, s8, v32, 0
	v_lshlrev_b64_e32 v[11:12], 2, v[19:20]
	v_mov_b32_e32 v31, v8
	global_load_b32 v19, v[6:7], off
	v_add_co_u32 v3, s0, v38, v3
	v_dual_mov_b32 v5, v10 :: v_dual_mov_b32 v6, v15
	v_lshlrev_b64_e32 v[7:8], 2, v[30:31]
	s_wait_alu 0xf1ff
	v_add_co_ci_u32_e64 v4, s0, v39, v4, s0
	v_add_co_u32 v11, s0, v38, v11
	v_mad_co_u64_u32 v[20:21], null, s9, v25, v[5:6]
	s_wait_alu 0xf1ff
	v_add_co_ci_u32_e64 v12, s0, v39, v12, s0
	v_mad_co_u64_u32 v[5:6], null, s9, v32, v[6:7]
	v_mad_co_u64_u32 v[32:33], null, s8, v28, 0
	s_delay_alu instid0(VALU_DEP_4)
	v_mov_b32_e32 v10, v20
	v_add_co_u32 v6, s0, v38, v7
	v_add_nc_u32_e32 v21, 0x181, v23
	s_wait_alu 0xf1ff
	v_add_co_ci_u32_e64 v7, s0, v39, v8, s0
	v_mov_b32_e32 v15, v5
	global_load_b32 v20, v[6:7], off
	v_lshlrev_b64_e32 v[5:6], 2, v[9:10]
	v_mov_b32_e32 v10, v33
	v_mad_co_u64_u32 v[30:31], null, s8, v21, 0
	v_lshlrev_b64_e32 v[7:8], 2, v[14:15]
	v_mad_co_u64_u32 v[14:15], null, s8, v36, 0
	s_delay_alu instid0(VALU_DEP_3) | instskip(NEXT) | instid1(VALU_DEP_3)
	v_mov_b32_e32 v9, v31
	v_add_co_u32 v7, s0, v38, v7
	s_wait_alu 0xf1ff
	s_delay_alu instid0(VALU_DEP_4) | instskip(NEXT) | instid1(VALU_DEP_3)
	v_add_co_ci_u32_e64 v8, s0, v39, v8, s0
	v_mad_co_u64_u32 v[33:34], null, s9, v21, v[9:10]
	v_mad_co_u64_u32 v[34:35], null, s8, v26, 0
	;; [unrolled: 1-line block ×3, first 2 shown]
	v_mov_b32_e32 v10, v15
	global_load_b32 v21, v[7:8], off
	v_mov_b32_e32 v31, v33
	v_mov_b32_e32 v15, v35
	v_mad_co_u64_u32 v[35:36], null, s9, v36, v[10:11]
	v_mov_b32_e32 v33, v9
	v_add_co_u32 v36, s0, v38, v5
	s_delay_alu instid0(VALU_DEP_4)
	v_mad_co_u64_u32 v[9:10], null, s9, v26, v[15:16]
	s_wait_alu 0xf1ff
	v_add_co_ci_u32_e64 v37, s0, v39, v6, s0
	v_mov_b32_e32 v15, v35
	v_lshlrev_b64_e32 v[7:8], 2, v[30:31]
	v_mov_b32_e32 v30, v22
	v_lshlrev_b64_e32 v[5:6], 2, v[32:33]
	;; [unrolled: 2-line block ×3, first 2 shown]
	s_delay_alu instid0(VALU_DEP_3) | instskip(SKIP_1) | instid1(VALU_DEP_4)
	v_add_co_u32 v5, s0, v38, v5
	s_wait_alu 0xf1ff
	v_add_co_ci_u32_e64 v6, s0, v39, v6, s0
	v_lshlrev_b64_e32 v[14:15], 2, v[34:35]
	s_delay_alu instid0(VALU_DEP_4)
	v_add_co_u32 v9, s0, v38, v9
	s_wait_alu 0xf1ff
	v_add_co_ci_u32_e64 v10, s0, v39, v10, s0
	v_add_co_u32 v33, s0, v38, v7
	s_wait_alu 0xf1ff
	v_add_co_ci_u32_e64 v34, s0, v39, v8, s0
	v_add_co_u32 v8, s0, v38, v14
	s_clause 0x1
	global_load_b32 v31, v[5:6], off
	global_load_b32 v32, v[9:10], off
	s_wait_alu 0xf1ff
	v_add_co_ci_u32_e64 v9, s0, v39, v15, s0
	s_clause 0x4
	global_load_b32 v7, v[3:4], off
	global_load_b32 v6, v[11:12], off
	;; [unrolled: 1-line block ×5, first 2 shown]
	v_dual_mov_b32 v35, v26 :: v_dual_mov_b32 v36, v25
	v_mov_b32_e32 v34, v24
	s_wait_loadcnt 0xc
	v_lshrrev_b32_e32 v12, 16, v13
	s_wait_loadcnt 0xa
	v_lshrrev_b32_e32 v15, 16, v18
	;; [unrolled: 2-line block ×7, first 2 shown]
.LBB0_12:
	s_or_b32 exec_lo, exec_lo, s1
	v_mul_hi_u32 v33, 0xaaaaaaab, v1
	v_sub_f16_e32 v13, v0, v13
	v_sub_f16_e32 v18, v2, v18
	s_wait_loadcnt 0x3
	v_sub_f16_e32 v20, v6, v20
	v_sub_f16_e32 v19, v7, v19
	s_wait_loadcnt 0x2
	v_sub_f16_e32 v21, v5, v21
	s_wait_loadcnt 0x1
	;; [unrolled: 2-line block ×3, first 2 shown]
	v_sub_f16_e32 v50, v3, v32
	v_lshrrev_b32_e32 v33, 1, v33
	v_lshlrev_b32_e32 v31, 1, v23
	v_fma_f16 v32, v0, 2.0, -v13
	v_fma_f16 v37, v2, 2.0, -v18
	;; [unrolled: 1-line block ×3, first 2 shown]
	v_lshl_add_u32 v33, v33, 1, v33
	v_fma_f16 v38, v7, 2.0, -v19
	v_fma_f16 v41, v5, 2.0, -v21
	;; [unrolled: 1-line block ×4, first 2 shown]
	v_sub_nc_u32_e32 v1, v1, v33
	v_pack_b32_f16 v43, v32, v13
	v_pack_b32_f16 v37, v37, v18
	;; [unrolled: 1-line block ×4, first 2 shown]
	v_mul_u32_u24_e32 v1, 0x436, v1
	v_pack_b32_f16 v21, v41, v21
	v_pack_b32_f16 v41, v42, v40
	;; [unrolled: 1-line block ×3, first 2 shown]
	v_cmp_gt_u32_e64 s0, 21, v23
	v_lshlrev_b32_e32 v33, 1, v1
                                        ; implicit-def: $vgpr65
                                        ; implicit-def: $vgpr66
                                        ; implicit-def: $vgpr67
                                        ; implicit-def: $vgpr60
                                        ; implicit-def: $vgpr62
                                        ; implicit-def: $vgpr68
                                        ; implicit-def: $vgpr71
                                        ; implicit-def: $vgpr74
	s_delay_alu instid0(VALU_DEP_1) | instskip(SKIP_1) | instid1(VALU_DEP_2)
	v_add_nc_u32_e32 v44, 0, v33
	v_add3_u32 v32, 0, v31, v33
	v_lshl_add_u32 v1, v23, 2, v44
	v_add_nc_u32_e32 v31, v44, v31
	v_lshl_add_u32 v20, v30, 2, v44
	v_lshl_add_u32 v19, v34, 2, v44
	;; [unrolled: 1-line block ×4, first 2 shown]
	ds_store_b32 v1, v43
	ds_store_b32 v20, v37
	ds_store_b32 v19, v38
	ds_store_b32 v1, v39 offset:924
	ds_store_b32 v18, v21
	ds_store_b32 v1, v41 offset:1540
	ds_store_b32 v13, v42
	global_wb scope:SCOPE_SE
	s_wait_dscnt 0x0
	s_barrier_signal -1
	s_barrier_wait -1
	global_inv scope:SCOPE_SE
	ds_load_u16 v48, v31
	ds_load_u16 v73, v32 offset:196
	ds_load_u16 v72, v32 offset:392
	;; [unrolled: 1-line block ×10, first 2 shown]
	v_lshlrev_b32_e32 v39, 1, v30
	s_and_saveexec_b32 s1, s0
	s_cbranch_execz .LBB0_14
; %bb.13:
	s_delay_alu instid0(VALU_DEP_1)
	v_add3_u32 v21, 0, v39, v33
	ds_load_u16 v51, v32 offset:350
	ds_load_u16 v50, v32 offset:546
	;; [unrolled: 1-line block ×9, first 2 shown]
	ds_load_u16 v40, v21
	ds_load_u16 v60, v32 offset:2114
.LBB0_14:
	s_wait_alu 0xfffe
	s_or_b32 exec_lo, exec_lo, s1
	v_lshrrev_b32_e32 v0, 16, v0
	v_lshrrev_b32_e32 v2, 16, v2
	;; [unrolled: 1-line block ×5, first 2 shown]
	v_sub_f16_e32 v12, v0, v12
	v_sub_f16_e32 v15, v2, v15
	v_lshrrev_b32_e32 v4, 16, v4
	v_lshrrev_b32_e32 v3, 16, v3
	v_sub_f16_e32 v8, v7, v8
	v_fma_f16 v0, v0, 2.0, -v12
	v_fma_f16 v2, v2, 2.0, -v15
	v_sub_f16_e32 v9, v6, v9
	v_sub_f16_e32 v10, v5, v10
	;; [unrolled: 1-line block ×4, first 2 shown]
	v_fma_f16 v7, v7, 2.0, -v8
	v_pack_b32_f16 v0, v0, v12
	v_fma_f16 v6, v6, 2.0, -v9
	v_pack_b32_f16 v2, v2, v15
	v_fma_f16 v5, v5, 2.0, -v10
	v_fma_f16 v4, v4, 2.0, -v38
	;; [unrolled: 1-line block ×3, first 2 shown]
	global_wb scope:SCOPE_SE
	s_wait_dscnt 0x0
	s_barrier_signal -1
	s_barrier_wait -1
	global_inv scope:SCOPE_SE
	ds_store_b32 v1, v0
	ds_store_b32 v20, v2
	v_pack_b32_f16 v0, v7, v8
	v_pack_b32_f16 v2, v6, v9
	;; [unrolled: 1-line block ×5, first 2 shown]
	ds_store_b32 v19, v0
	ds_store_b32 v1, v2 offset:924
	ds_store_b32 v18, v3
	ds_store_b32 v1, v4 offset:1540
	ds_store_b32 v13, v5
	global_wb scope:SCOPE_SE
	s_wait_dscnt 0x0
	s_barrier_signal -1
	s_barrier_wait -1
	global_inv scope:SCOPE_SE
	ds_load_u16 v41, v31
	ds_load_u16 v97, v32 offset:196
	ds_load_u16 v96, v32 offset:392
	ds_load_u16 v94, v32 offset:588
	ds_load_u16 v93, v32 offset:784
	ds_load_u16 v90, v32 offset:980
	ds_load_u16 v89, v32 offset:1176
	ds_load_u16 v84, v32 offset:1372
	ds_load_u16 v83, v32 offset:1568
	ds_load_u16 v81, v32 offset:1764
	ds_load_u16 v79, v32 offset:1960
                                        ; implicit-def: $vgpr85
                                        ; implicit-def: $vgpr86
                                        ; implicit-def: $vgpr87
                                        ; implicit-def: $vgpr80
                                        ; implicit-def: $vgpr82
                                        ; implicit-def: $vgpr88
                                        ; implicit-def: $vgpr92
                                        ; implicit-def: $vgpr95
	s_and_saveexec_b32 s1, s0
	s_cbranch_execz .LBB0_16
; %bb.15:
	v_add3_u32 v0, 0, v39, v33
	ds_load_u16 v78, v32 offset:350
	ds_load_u16 v75, v32 offset:546
	;; [unrolled: 1-line block ×9, first 2 shown]
	ds_load_u16 v38, v0
	ds_load_u16 v80, v32 offset:2114
.LBB0_16:
	s_wait_alu 0xfffe
	s_or_b32 exec_lo, exec_lo, s1
	v_and_b32_e32 v42, 1, v23
	v_and_b32_e32 v37, 1, v30
	v_lshrrev_b32_e32 v43, 1, v23
	s_delay_alu instid0(VALU_DEP_3) | instskip(NEXT) | instid1(VALU_DEP_3)
	v_mul_u32_u24_e32 v0, 10, v42
	v_mul_u32_u24_e32 v1, 10, v37
	s_delay_alu instid0(VALU_DEP_3) | instskip(NEXT) | instid1(VALU_DEP_3)
	v_mul_u32_u24_e32 v43, 22, v43
	v_lshlrev_b32_e32 v0, 2, v0
	s_delay_alu instid0(VALU_DEP_3) | instskip(NEXT) | instid1(VALU_DEP_3)
	v_lshlrev_b32_e32 v20, 2, v1
	v_or_b32_e32 v43, v43, v42
	v_lshrrev_b32_e32 v42, 1, v30
	s_clause 0x5
	global_load_b128 v[8:11], v0, s[4:5]
	global_load_b128 v[4:7], v0, s[4:5] offset:16
	global_load_b64 v[18:19], v0, s[4:5] offset:32
	global_load_b128 v[0:3], v20, s[4:5]
	global_load_b128 v[12:15], v20, s[4:5] offset:16
	global_load_b64 v[20:21], v20, s[4:5] offset:32
	v_lshlrev_b32_e32 v43, 1, v43
	global_wb scope:SCOPE_SE
	s_wait_loadcnt_dscnt 0x0
	s_barrier_signal -1
	s_barrier_wait -1
	global_inv scope:SCOPE_SE
	v_add3_u32 v53, 0, v43, v33
	v_lshrrev_b32_e32 v55, 16, v18
	v_lshrrev_b32_e32 v43, 16, v8
	v_lshrrev_b32_e32 v44, 16, v9
	v_lshrrev_b32_e32 v45, 16, v10
	v_lshrrev_b32_e32 v46, 16, v11
	v_lshrrev_b32_e32 v47, 16, v4
	v_lshrrev_b32_e32 v49, 16, v5
	v_lshrrev_b32_e32 v52, 16, v6
	v_lshrrev_b32_e32 v54, 16, v7
	v_lshrrev_b32_e32 v56, 16, v19
	v_lshrrev_b32_e32 v106, 16, v1
	v_lshrrev_b32_e32 v108, 16, v3
	v_lshrrev_b32_e32 v110, 16, v13
	v_lshrrev_b32_e32 v112, 16, v15
	v_lshrrev_b32_e32 v113, 16, v20
	v_mul_f16_e32 v103, v97, v43
	v_mul_f16_e32 v115, v73, v43
	;; [unrolled: 1-line block ×20, first 2 shown]
	v_lshrrev_b32_e32 v105, 16, v0
	v_lshrrev_b32_e32 v107, 16, v2
	;; [unrolled: 1-line block ×5, first 2 shown]
	v_mul_f16_e32 v52, v75, v106
	v_mul_f16_e32 v106, v50, v106
	v_mul_f16_e32 v45, v86, v108
	v_mul_f16_e32 v108, v66, v108
	v_mul_f16_e32 v44, v95, v110
	v_mul_f16_e32 v110, v74, v110
	v_mul_f16_e32 v49, v88, v112
	v_mul_f16_e32 v112, v68, v112
	v_mul_f16_e32 v54, v82, v113
	v_mul_f16_e32 v113, v62, v113
	v_fmac_f16_e32 v103, v73, v8
	v_fma_f16 v73, v97, v8, -v115
	v_fmac_f16_e32 v101, v72, v9
	v_fma_f16 v72, v96, v9, -v116
	;; [unrolled: 2-line block ×10, first 2 shown]
	v_mul_f16_e32 v55, v78, v105
	v_mul_f16_e32 v105, v51, v105
	;; [unrolled: 1-line block ×10, first 2 shown]
	v_fmac_f16_e32 v52, v50, v1
	v_fma_f16 v18, v75, v1, -v106
	v_fmac_f16_e32 v45, v66, v3
	v_fma_f16 v6, v86, v3, -v108
	;; [unrolled: 2-line block ×5, first 2 shown]
	v_sub_f16_e32 v1, v73, v57
	v_sub_f16_e32 v3, v72, v58
	;; [unrolled: 1-line block ×5, first 2 shown]
	v_add_f16_e32 v50, v48, v103
	v_fmac_f16_e32 v55, v51, v0
	v_fma_f16 v19, v78, v0, -v105
	v_fmac_f16_e32 v47, v65, v2
	v_fma_f16 v8, v85, v2, -v107
	;; [unrolled: 2-line block ×5, first 2 shown]
	v_add_f16_e32 v0, v103, v104
	v_add_f16_e32 v2, v101, v102
	;; [unrolled: 1-line block ×5, first 2 shown]
	v_mul_f16_e32 v51, 0xb853, v1
	v_mul_f16_e32 v60, 0xbb47, v1
	;; [unrolled: 1-line block ×25, first 2 shown]
	v_add_f16_e32 v50, v50, v101
	v_fmamk_f16 v88, v0, 0x3abb, v51
	v_fma_f16 v51, v0, 0x3abb, -v51
	v_fmamk_f16 v89, v0, 0x36a6, v60
	v_fma_f16 v60, v0, 0x36a6, -v60
	;; [unrolled: 2-line block ×25, first 2 shown]
	v_add_f16_e32 v21, v50, v99
	v_add_f16_e32 v50, v48, v88
	v_add_f16_e32 v88, v48, v89
	v_add_f16_e32 v51, v48, v51
	v_add_f16_e32 v60, v48, v60
	v_add_f16_e32 v21, v21, v91
	v_add_f16_e32 v1, v1, v50
	v_add_f16_e32 v89, v48, v90
	v_add_f16_e32 v90, v48, v92
	v_add_f16_e32 v62, v48, v62
	v_add_f16_e32 v21, v21, v76
	v_add_f16_e32 v65, v48, v65
	v_add_f16_e32 v92, v48, v93
	v_add_f16_e32 v0, v48, v0
	v_add_f16_e32 v50, v94, v88
	v_add_f16_e32 v1, v3, v1
	v_add_f16_e32 v3, v21, v77
	v_add_f16_e32 v48, v66, v51
	v_add_f16_e32 v51, v67, v60
	v_add_f16_e32 v60, v95, v89
	v_add_f16_e32 v66, v96, v90
	v_add_f16_e32 v62, v68, v62
	v_add_f16_e32 v65, v71, v65
	v_add_f16_e32 v67, v97, v92
	v_add_f16_e32 v0, v2, v0
	v_add_f16_e32 v21, v105, v50
	v_add_f16_e32 v3, v3, v98
	v_add_f16_e32 v50, v106, v60
	v_add_f16_e32 v60, v107, v66
	v_add_f16_e32 v2, v74, v48
	v_add_f16_e32 v48, v75, v51
	v_add_f16_e32 v51, v78, v62
	v_add_f16_e32 v62, v79, v65
	v_add_f16_e32 v65, v108, v67
	v_add_f16_e32 v0, v12, v0
	v_add_f16_e32 v12, v109, v21
	v_add_f16_e32 v3, v3, v100
	v_add_f16_e32 v21, v110, v50
	v_add_f16_e32 v50, v111, v60
	v_add_f16_e32 v60, v112, v65
	v_add_f16_e32 v0, v14, v0
	v_add_f16_e32 v1, v13, v1
	v_add_f16_e32 v2, v80, v2
	v_add_f16_e32 v13, v81, v48
	v_add_f16_e32 v48, v82, v51
	v_add_f16_e32 v51, v83, v62
	v_add_f16_e32 v12, v113, v12
	v_add_f16_e32 v3, v3, v102
	v_add_f16_e32 v14, v114, v21
	v_add_f16_e32 v21, v115, v50
	v_add_f16_e32 v50, v116, v60
	v_add_f16_e32 v0, v20, v0
	v_add_f16_e32 v1, v15, v1
	v_add_f16_e32 v2, v84, v2
	v_add_f16_e32 v13, v85, v13
	v_add_f16_e32 v15, v86, v48
	v_add_f16_e32 v48, v87, v51
	v_add_f16_e32 v3, v3, v104
	ds_store_b16 v53, v12 offset:8
	ds_store_b16 v53, v14 offset:12
	;; [unrolled: 1-line block ×7, first 2 shown]
	ds_store_b16 v53, v3
	ds_store_b16 v53, v15 offset:32
	ds_store_b16 v53, v13 offset:36
	ds_store_b16 v53, v2 offset:40
	s_and_saveexec_b32 s1, s0
	s_cbranch_execz .LBB0_18
; %bb.17:
	v_sub_f16_e32 v2, v19, v10
	v_add_f16_e32 v1, v55, v56
	v_sub_f16_e32 v12, v18, v11
	v_add_f16_e32 v3, v52, v54
	v_sub_f16_e32 v14, v8, v9
	v_mul_f16_e32 v50, 0xb482, v2
	v_add_f16_e32 v13, v47, v49
	v_mul_f16_e32 v51, 0x3853, v12
	v_sub_f16_e32 v20, v6, v7
	v_mul_f16_e32 v60, 0xba0c, v14
	v_fma_f16 v66, v1, 0xbbad, -v50
	v_add_f16_e32 v15, v45, v46
	v_fma_f16 v71, v3, 0x3abb, -v51
	v_sub_f16_e32 v48, v4, v5
	v_mul_f16_e32 v62, 0x3b47, v20
	v_add_f16_e32 v66, v40, v66
	v_fma_f16 v74, v13, 0xb93d, -v60
	v_fmac_f16_e32 v50, 0xbbad, v1
	v_add_f16_e32 v21, v43, v44
	v_mul_f16_e32 v65, 0xbbeb, v48
	v_add_f16_e32 v66, v71, v66
	v_mul_f16_e32 v67, 0xba0c, v2
	v_fma_f16 v75, v15, 0x36a6, -v62
	v_fmac_f16_e32 v51, 0x3abb, v3
	v_add_f16_e32 v50, v40, v50
	v_add_f16_e32 v66, v74, v66
	v_mul_f16_e32 v68, 0x3beb, v12
	v_fma_f16 v71, v21, 0xb08e, -v65
	v_fmac_f16_e32 v60, 0xb93d, v13
	v_fma_f16 v74, v1, 0xb93d, -v67
	v_add_f16_e32 v50, v51, v50
	v_add_f16_e32 v51, v75, v66
	v_fmac_f16_e32 v62, 0x36a6, v15
	v_fmac_f16_e32 v65, 0xb08e, v21
	v_add_f16_e32 v66, v40, v74
	v_add_f16_e32 v50, v60, v50
	;; [unrolled: 1-line block ×3, first 2 shown]
	v_fma_f16 v60, v3, 0xb08e, -v68
	v_mul_f16_e32 v71, 0xb853, v14
	v_fmac_f16_e32 v67, 0xb93d, v1
	v_add_f16_e32 v50, v62, v50
	v_fmac_f16_e32 v68, 0xb08e, v3
	v_add_f16_e32 v60, v60, v66
	v_fma_f16 v62, v13, 0x3abb, -v71
	v_mul_f16_e32 v66, 0xb482, v20
	v_add_f16_e32 v50, v65, v50
	v_add_f16_e32 v65, v40, v67
	v_mul_f16_e32 v67, 0xbbeb, v2
	v_add_f16_e32 v60, v62, v60
	v_fma_f16 v62, v15, 0xbbad, -v66
	v_fmac_f16_e32 v71, 0x3abb, v13
	v_add_f16_e32 v65, v68, v65
	v_mul_f16_e32 v68, 0x3482, v12
	v_mul_f16_e32 v74, 0x3b47, v48
	v_add_f16_e32 v60, v62, v60
	v_fma_f16 v62, v1, 0xb08e, -v67
	v_add_f16_e32 v65, v71, v65
	v_fmac_f16_e32 v66, 0xbbad, v15
	v_fma_f16 v71, v3, 0xbbad, -v68
	v_mul_f16_e32 v78, 0x3b47, v14
	v_add_f16_e32 v62, v40, v62
	v_add_f16_e32 v0, v40, v55
	v_fma_f16 v75, v21, 0x36a6, -v74
	v_add_f16_e32 v65, v66, v65
	v_fmac_f16_e32 v67, 0xb08e, v1
	v_add_f16_e32 v62, v71, v62
	v_fma_f16 v66, v13, 0x36a6, -v78
	v_mul_f16_e32 v71, 0xb853, v20
	v_add_f16_e32 v0, v0, v52
	v_add_f16_e32 v60, v75, v60
	;; [unrolled: 1-line block ×3, first 2 shown]
	v_fmac_f16_e32 v68, 0xbbad, v3
	v_add_f16_e32 v62, v66, v62
	v_fma_f16 v66, v15, 0x3abb, -v71
	v_mul_f16_e32 v75, 0xbb47, v2
	v_add_f16_e32 v0, v0, v47
	v_add_f16_e32 v67, v68, v67
	v_fmac_f16_e32 v78, 0x36a6, v13
	v_add_f16_e32 v62, v66, v62
	v_fma_f16 v66, v1, 0x36a6, -v75
	v_mul_f16_e32 v68, 0xba0c, v12
	v_fmac_f16_e32 v75, 0x36a6, v1
	v_mul_f16_e32 v2, 0xb853, v2
	v_add_f16_e32 v0, v0, v45
	v_add_f16_e32 v67, v78, v67
	v_fma_f16 v78, v3, 0xb93d, -v68
	v_add_f16_e32 v75, v40, v75
	v_fmac_f16_e32 v68, 0xb93d, v3
	v_mul_f16_e32 v12, 0xbb47, v12
	v_fma_f16 v81, v1, 0x3abb, -v2
	v_fmac_f16_e32 v2, 0x3abb, v1
	v_add_f16_e32 v0, v0, v43
	v_fmac_f16_e32 v74, 0x36a6, v21
	v_add_f16_e32 v1, v68, v75
	v_fma_f16 v68, v3, 0x36a6, -v12
	v_add_f16_e32 v2, v40, v2
	v_fmac_f16_e32 v12, 0x36a6, v3
	v_add_f16_e32 v0, v0, v44
	v_fmac_f16_e32 v71, 0x3abb, v15
	v_add_f16_e32 v66, v40, v66
	v_mul_f16_e32 v79, 0x3482, v14
	v_mul_f16_e32 v14, 0xbbeb, v14
	v_add_f16_e32 v65, v74, v65
	v_mul_f16_e32 v74, 0xba0c, v48
	v_add_f16_e32 v2, v12, v2
	v_mul_lo_u32 v12, v42, 22
	v_add_f16_e32 v0, v0, v46
	v_add_f16_e32 v3, v40, v81
	;; [unrolled: 1-line block ×4, first 2 shown]
	v_fma_f16 v71, v13, 0xbbad, -v79
	v_mul_f16_e32 v78, 0x3beb, v20
	v_fma_f16 v40, v13, 0xb08e, -v14
	v_mul_f16_e32 v20, 0xba0c, v20
	v_fmac_f16_e32 v14, 0xb08e, v13
	v_fma_f16 v80, v21, 0xb93d, -v74
	v_fmac_f16_e32 v74, 0xb93d, v21
	v_fmac_f16_e32 v79, 0xbbad, v13
	v_add_f16_e32 v0, v0, v49
	v_add_f16_e32 v3, v68, v3
	v_or_b32_e32 v12, v12, v37
	v_add_f16_e32 v66, v71, v66
	v_mul_f16_e32 v71, 0x3853, v48
	v_fma_f16 v13, v15, 0xb93d, -v20
	v_mul_f16_e32 v48, 0xb482, v48
	v_add_f16_e32 v2, v14, v2
	v_fmac_f16_e32 v20, 0xb93d, v15
	v_add_f16_e32 v67, v74, v67
	v_fma_f16 v74, v15, 0xb08e, -v78
	v_add_f16_e32 v1, v79, v1
	v_fmac_f16_e32 v78, 0xb08e, v15
	v_add_f16_e32 v0, v0, v54
	v_add_f16_e32 v3, v40, v3
	v_lshlrev_b32_e32 v12, 1, v12
	v_fma_f16 v14, v21, 0xbbad, -v48
	v_add_f16_e32 v2, v20, v2
	v_fmac_f16_e32 v48, 0xbbad, v21
	v_add_f16_e32 v62, v80, v62
	v_fma_f16 v80, v21, 0x3abb, -v71
	v_add_f16_e32 v1, v78, v1
	v_fmac_f16_e32 v71, 0x3abb, v21
	v_add_f16_e32 v0, v0, v56
	v_add_f16_e32 v15, v74, v66
	;; [unrolled: 1-line block ×3, first 2 shown]
	v_add3_u32 v12, 0, v12, v33
	v_add_f16_e32 v2, v48, v2
	v_add_f16_e32 v1, v71, v1
	;; [unrolled: 1-line block ×4, first 2 shown]
	ds_store_b16 v12, v0
	ds_store_b16 v12, v2 offset:4
	ds_store_b16 v12, v1 offset:8
	;; [unrolled: 1-line block ×10, first 2 shown]
.LBB0_18:
	s_wait_alu 0xfffe
	s_or_b32 exec_lo, exec_lo, s1
	v_add_f16_e32 v0, v41, v73
	v_add_f16_e32 v1, v73, v57
	v_sub_f16_e32 v2, v103, v104
	v_add_f16_e32 v3, v72, v58
	v_sub_f16_e32 v12, v101, v102
	v_add_f16_e32 v0, v0, v72
	v_mul_f16_e32 v13, 0x3abb, v1
	v_mul_f16_e32 v14, 0x36a6, v1
	;; [unrolled: 1-line block ×4, first 2 shown]
	v_add_f16_e32 v0, v0, v70
	v_mul_f16_e32 v1, 0xbbad, v1
	v_mul_f16_e32 v21, 0x36a6, v3
	v_fmamk_f16 v50, v2, 0x3853, v13
	v_fmac_f16_e32 v13, 0xb853, v2
	v_add_f16_e32 v0, v0, v69
	v_mul_f16_e32 v48, 0xbbad, v3
	v_fmamk_f16 v51, v2, 0x3b47, v14
	v_fmac_f16_e32 v14, 0xbb47, v2
	v_fmamk_f16 v60, v2, 0x3beb, v15
	v_add_f16_e32 v0, v0, v64
	v_fmac_f16_e32 v15, 0xbbeb, v2
	v_fmamk_f16 v62, v2, 0x3a0c, v20
	v_fmac_f16_e32 v20, 0xba0c, v2
	v_fmamk_f16 v65, v2, 0x3482, v1
	v_add_f16_e32 v0, v0, v63
	v_fmac_f16_e32 v1, 0xb482, v2
	v_fmamk_f16 v2, v12, 0x3b47, v21
	v_fmac_f16_e32 v21, 0xbb47, v12
	v_add_f16_e32 v13, v41, v13
	v_add_f16_e32 v0, v0, v61
	v_mul_f16_e32 v40, 0xb93d, v3
	v_add_f16_e32 v15, v41, v15
	v_add_f16_e32 v50, v41, v50
	v_add_f16_e32 v51, v41, v51
	v_add_f16_e32 v0, v0, v59
	v_fmamk_f16 v66, v12, 0x3a0c, v40
	v_add_f16_e32 v14, v41, v14
	v_fmac_f16_e32 v40, 0xba0c, v12
	v_add_f16_e32 v60, v41, v60
	v_add_f16_e32 v0, v0, v58
	;; [unrolled: 1-line block ×8, first 2 shown]
	v_fmamk_f16 v21, v12, 0xb482, v48
	v_fmac_f16_e32 v48, 0x3482, v12
	v_mul_f16_e32 v13, 0xb08e, v3
	v_mul_f16_e32 v3, 0x3abb, v3
	v_add_f16_e32 v2, v2, v50
	v_add_f16_e32 v41, v66, v51
	;; [unrolled: 1-line block ×5, first 2 shown]
	v_fmamk_f16 v40, v12, 0xbbeb, v13
	v_fmac_f16_e32 v13, 0x3beb, v12
	v_fmamk_f16 v50, v12, 0xb853, v3
	v_sub_f16_e32 v51, v99, v100
	v_mul_f16_e32 v59, 0xb08e, v48
	v_fmac_f16_e32 v3, 0x3853, v12
	v_add_f16_e32 v12, v13, v20
	v_add_f16_e32 v13, v50, v58
	v_mul_f16_e32 v20, 0xbbad, v48
	v_fmamk_f16 v50, v51, 0x3beb, v59
	v_add_f16_e32 v1, v3, v1
	v_mul_f16_e32 v3, 0x36a6, v48
	v_add_f16_e32 v21, v21, v60
	v_fmamk_f16 v58, v51, 0xb482, v20
	v_add_f16_e32 v2, v50, v2
	v_fmac_f16_e32 v20, 0x3482, v51
	v_fmamk_f16 v50, v51, 0xbb47, v3
	v_fmac_f16_e32 v3, 0x3b47, v51
	v_fmac_f16_e32 v59, 0xbbeb, v51
	v_add_f16_e32 v40, v40, v62
	v_add_f16_e32 v14, v20, v14
	v_mul_f16_e32 v20, 0x3abb, v48
	v_mul_f16_e32 v48, 0xb93d, v48
	v_add_f16_e32 v3, v3, v15
	v_add_f16_e32 v15, v69, v61
	;; [unrolled: 1-line block ×5, first 2 shown]
	v_fmamk_f16 v50, v51, 0x3853, v20
	v_fmac_f16_e32 v20, 0xb853, v51
	v_fmamk_f16 v58, v51, 0x3a0c, v48
	v_sub_f16_e32 v59, v91, v98
	v_mul_f16_e32 v60, 0xb93d, v15
	v_fmac_f16_e32 v48, 0xba0c, v51
	v_add_f16_e32 v40, v50, v40
	v_add_f16_e32 v12, v20, v12
	v_mul_f16_e32 v50, 0xb08e, v15
	v_fmamk_f16 v20, v59, 0x3a0c, v60
	v_add_f16_e32 v1, v48, v1
	v_mul_f16_e32 v48, 0x3abb, v15
	v_add_f16_e32 v13, v58, v13
	v_mul_f16_e32 v58, 0xbbad, v15
	v_add_f16_e32 v2, v20, v2
	v_fmamk_f16 v20, v59, 0xbbeb, v50
	v_fmamk_f16 v51, v59, 0x3853, v48
	v_fmac_f16_e32 v48, 0xb853, v59
	v_fmac_f16_e32 v50, 0x3beb, v59
	v_mul_f16_e32 v15, 0x36a6, v15
	v_add_f16_e32 v20, v20, v41
	v_fmamk_f16 v41, v59, 0x3482, v58
	v_add_f16_e32 v3, v48, v3
	v_add_f16_e32 v48, v64, v63
	v_fmac_f16_e32 v60, 0xba0c, v59
	v_add_f16_e32 v14, v50, v14
	v_add_f16_e32 v21, v51, v21
	;; [unrolled: 1-line block ×3, first 2 shown]
	v_fmamk_f16 v40, v59, 0xbb47, v15
	v_sub_f16_e32 v41, v76, v77
	v_mul_f16_e32 v50, 0xbbad, v48
	v_fmac_f16_e32 v15, 0x3b47, v59
	v_fmac_f16_e32 v58, 0xb482, v59
	v_add_f16_e32 v0, v60, v0
	v_add_f16_e32 v59, v40, v13
	v_fmamk_f16 v13, v41, 0x3482, v50
	v_fmac_f16_e32 v50, 0xb482, v41
	v_add_f16_e32 v60, v15, v1
	v_mul_f16_e32 v15, 0xb93d, v48
	v_add_f16_e32 v58, v58, v12
	v_mul_f16_e32 v12, 0x3abb, v48
	;; [unrolled: 2-line block ×3, first 2 shown]
	v_fmamk_f16 v0, v41, 0x3a0c, v15
	v_fmac_f16_e32 v15, 0xba0c, v41
	v_fmamk_f16 v1, v41, 0xb853, v12
	v_fmac_f16_e32 v12, 0x3853, v41
	v_mul_f16_e32 v66, 0xb08e, v48
	v_add_f16_e32 v67, v0, v21
	v_lshlrev_b32_e32 v0, 1, v36
	v_add_f16_e32 v63, v1, v20
	v_lshlrev_b32_e32 v1, 1, v35
	;; [unrolled: 2-line block ×3, first 2 shown]
	v_add3_u32 v0, 0, v0, v33
	v_add_f16_e32 v61, v13, v2
	v_add3_u32 v1, 0, v1, v33
	v_add3_u32 v2, 0, v39, v33
	v_add_f16_e32 v65, v12, v14
	v_fmamk_f16 v69, v41, 0xbb47, v64
	v_fmac_f16_e32 v64, 0x3b47, v41
	v_fmamk_f16 v70, v41, 0x3beb, v66
	v_fmac_f16_e32 v66, 0xbbeb, v41
	global_wb scope:SCOPE_SE
	s_wait_dscnt 0x0
	s_barrier_signal -1
	s_barrier_wait -1
	global_inv scope:SCOPE_SE
	v_add3_u32 v3, 0, v3, v33
	ds_load_u16 v15, v32 offset:1848
	ds_load_u16 v40, v0
	ds_load_u16 v39, v1
	;; [unrolled: 1-line block ×4, first 2 shown]
	ds_load_u16 v21, v32 offset:462
	ds_load_u16 v20, v32 offset:770
	;; [unrolled: 1-line block ×7, first 2 shown]
	ds_load_u16 v50, v3
	ds_load_u16 v35, v32 offset:2002
	v_add_f16_e32 v51, v69, v51
	v_add_f16_e32 v58, v64, v58
	;; [unrolled: 1-line block ×4, first 2 shown]
	global_wb scope:SCOPE_SE
	s_wait_dscnt 0x0
	s_barrier_signal -1
	s_barrier_wait -1
	global_inv scope:SCOPE_SE
	ds_store_b16 v53, v57
	ds_store_b16 v53, v61 offset:4
	ds_store_b16 v53, v63 offset:8
	;; [unrolled: 1-line block ×10, first 2 shown]
	s_and_saveexec_b32 s1, s0
	s_cbranch_execz .LBB0_20
; %bb.19:
	v_add_f16_e32 v51, v38, v19
	v_sub_f16_e32 v53, v55, v56
	v_add_f16_e32 v55, v18, v11
	v_add_f16_e32 v19, v19, v10
	v_sub_f16_e32 v52, v52, v54
	v_add_f16_e32 v18, v51, v18
	v_sub_f16_e32 v47, v47, v49
	v_mul_f16_e32 v58, 0x36a6, v55
	v_mul_f16_e32 v51, 0x3abb, v19
	;; [unrolled: 1-line block ×3, first 2 shown]
	v_add_f16_e32 v18, v18, v8
	v_mul_f16_e32 v56, 0xb08e, v19
	v_mul_f16_e32 v57, 0xb93d, v19
	;; [unrolled: 1-line block ×3, first 2 shown]
	v_fmamk_f16 v61, v53, 0x3853, v51
	v_add_f16_e32 v18, v18, v6
	v_fmac_f16_e32 v51, 0xb853, v53
	v_mul_f16_e32 v59, 0xb93d, v55
	v_fmamk_f16 v62, v53, 0x3b47, v54
	v_fmac_f16_e32 v54, 0xbb47, v53
	v_add_f16_e32 v18, v18, v4
	v_fmamk_f16 v63, v53, 0x3beb, v56
	v_fmac_f16_e32 v56, 0xbbeb, v53
	v_fmamk_f16 v64, v53, 0x3a0c, v57
	v_fmac_f16_e32 v57, 0xba0c, v53
	v_add_f16_e32 v18, v18, v5
	v_fmamk_f16 v65, v53, 0x3482, v19
	v_fmac_f16_e32 v19, 0xb482, v53
	v_fmamk_f16 v53, v52, 0x3b47, v58
	v_fmac_f16_e32 v58, 0xbb47, v52
	v_add_f16_e32 v18, v18, v7
	v_add_f16_e32 v51, v38, v51
	v_mul_f16_e32 v60, 0xbbad, v55
	v_fmamk_f16 v66, v52, 0x3a0c, v59
	v_add_f16_e32 v54, v38, v54
	v_add_f16_e32 v18, v18, v9
	v_fmac_f16_e32 v59, 0xba0c, v52
	v_add_f16_e32 v8, v8, v9
	v_add_f16_e32 v61, v38, v61
	;; [unrolled: 1-line block ×7, first 2 shown]
	v_mul_f16_e32 v49, 0xb08e, v8
	v_add_f16_e32 v10, v11, v10
	v_add_f16_e32 v11, v58, v51
	v_mul_f16_e32 v58, 0xb08e, v55
	v_mul_f16_e32 v55, 0x3abb, v55
	v_add_f16_e32 v63, v38, v63
	v_add_f16_e32 v56, v38, v56
	;; [unrolled: 1-line block ×3, first 2 shown]
	v_fmamk_f16 v9, v52, 0xbbeb, v58
	v_fmac_f16_e32 v58, 0x3beb, v52
	v_fmamk_f16 v59, v52, 0xb853, v55
	v_add_f16_e32 v19, v38, v19
	v_add_f16_e32 v38, v53, v61
	v_fmamk_f16 v51, v52, 0xb482, v60
	v_fmac_f16_e32 v60, 0x3482, v52
	v_fmac_f16_e32 v55, 0x3853, v52
	v_add_f16_e32 v18, v58, v18
	v_add_f16_e32 v52, v59, v57
	v_fmamk_f16 v57, v47, 0x3beb, v49
	v_mul_f16_e32 v58, 0xbbad, v8
	v_add_f16_e32 v53, v66, v62
	v_add_f16_e32 v19, v55, v19
	v_fmac_f16_e32 v49, 0xbbeb, v47
	v_mul_f16_e32 v55, 0x36a6, v8
	v_add_f16_e32 v38, v57, v38
	v_fmamk_f16 v57, v47, 0xb482, v58
	v_add_f16_e32 v51, v51, v63
	v_add_f16_e32 v56, v60, v56
	;; [unrolled: 1-line block ×3, first 2 shown]
	v_fmamk_f16 v49, v47, 0xbb47, v55
	v_fmac_f16_e32 v55, 0x3b47, v47
	v_add_f16_e32 v53, v57, v53
	v_mul_f16_e32 v57, 0x3abb, v8
	v_add_f16_e32 v6, v6, v7
	v_mul_f16_e32 v7, 0xb93d, v8
	v_add_f16_e32 v9, v9, v64
	v_add_f16_e32 v49, v49, v51
	;; [unrolled: 1-line block ×3, first 2 shown]
	v_fmamk_f16 v8, v47, 0x3853, v57
	v_fmac_f16_e32 v57, 0xb853, v47
	v_sub_f16_e32 v45, v45, v46
	v_mul_f16_e32 v46, 0xb93d, v6
	v_fmamk_f16 v55, v47, 0x3a0c, v7
	v_fmac_f16_e32 v58, 0x3482, v47
	v_add_f16_e32 v8, v8, v9
	v_add_f16_e32 v9, v57, v18
	v_fmac_f16_e32 v7, 0xba0c, v47
	v_fmamk_f16 v18, v45, 0x3a0c, v46
	v_add_f16_e32 v47, v55, v52
	v_mul_f16_e32 v52, 0xb08e, v6
	v_fmac_f16_e32 v46, 0xba0c, v45
	v_mul_lo_u32 v42, v42, 22
	v_add_f16_e32 v7, v7, v19
	v_add_f16_e32 v18, v18, v38
	v_mul_f16_e32 v19, 0x3abb, v6
	v_fmamk_f16 v38, v45, 0xbbeb, v52
	v_add_f16_e32 v11, v46, v11
	v_mul_f16_e32 v46, 0xbbad, v6
	v_mul_f16_e32 v6, 0x36a6, v6
	v_add_f16_e32 v4, v4, v5
	v_fmac_f16_e32 v52, 0x3beb, v45
	v_fmamk_f16 v55, v45, 0x3853, v19
	v_add_f16_e32 v38, v38, v53
	v_fmac_f16_e32 v19, 0xb853, v45
	v_fmamk_f16 v53, v45, 0x3482, v46
	v_fmac_f16_e32 v46, 0xb482, v45
	v_fmamk_f16 v5, v45, 0xbb47, v6
	v_fmac_f16_e32 v6, 0x3b47, v45
	v_sub_f16_e32 v43, v43, v44
	v_mul_f16_e32 v44, 0xbbad, v4
	v_mul_f16_e32 v45, 0x3abb, v4
	v_add_f16_e32 v54, v58, v54
	v_or_b32_e32 v37, v42, v37
	v_add_f16_e32 v9, v46, v9
	v_add_f16_e32 v5, v5, v47
	;; [unrolled: 1-line block ×3, first 2 shown]
	v_fmamk_f16 v7, v43, 0x3482, v44
	v_fmamk_f16 v46, v43, 0xb853, v45
	v_mul_f16_e32 v47, 0xb93d, v4
	v_add_f16_e32 v52, v52, v54
	v_fmac_f16_e32 v44, 0xb482, v43
	v_fmac_f16_e32 v45, 0x3853, v43
	v_mul_f16_e32 v42, 0x36a6, v4
	v_mul_f16_e32 v4, 0xb08e, v4
	v_lshlrev_b32_e32 v37, 1, v37
	v_add_f16_e32 v49, v55, v49
	v_add_f16_e32 v7, v7, v18
	v_add_f16_e32 v18, v46, v38
	v_fmamk_f16 v38, v43, 0x3a0c, v47
	v_add_f16_e32 v8, v53, v8
	v_add_f16_e32 v11, v44, v11
	;; [unrolled: 1-line block ×3, first 2 shown]
	v_fmamk_f16 v45, v43, 0xbb47, v42
	v_add_f16_e32 v19, v19, v51
	v_fmac_f16_e32 v47, 0xba0c, v43
	v_fmac_f16_e32 v42, 0x3b47, v43
	v_fmamk_f16 v46, v43, 0x3beb, v4
	v_fmac_f16_e32 v4, 0xbbeb, v43
	v_add3_u32 v37, 0, v37, v33
	v_add_f16_e32 v38, v38, v49
	v_add_f16_e32 v8, v45, v8
	;; [unrolled: 1-line block ×6, first 2 shown]
	ds_store_b16 v37, v10
	ds_store_b16 v37, v7 offset:4
	ds_store_b16 v37, v18 offset:8
	;; [unrolled: 1-line block ×10, first 2 shown]
.LBB0_20:
	s_wait_alu 0xfffe
	s_or_b32 exec_lo, exec_lo, s1
	v_lshrrev_b16 v4, 1, v23
	v_lshrrev_b16 v5, 1, v30
	global_wb scope:SCOPE_SE
	s_wait_dscnt 0x0
	s_barrier_signal -1
	s_barrier_wait -1
	v_and_b32_e32 v4, 0x7f, v4
	v_and_b32_e32 v5, 0x7f, v5
	global_inv scope:SCOPE_SE
	v_mul_lo_u16 v4, 0xbb, v4
	s_delay_alu instid0(VALU_DEP_1) | instskip(SKIP_1) | instid1(VALU_DEP_2)
	v_lshrrev_b16 v42, 11, v4
	v_mul_lo_u16 v4, 0xbb, v5
	v_mul_lo_u16 v5, v42, 22
	s_delay_alu instid0(VALU_DEP_2) | instskip(SKIP_1) | instid1(VALU_DEP_3)
	v_lshrrev_b16 v43, 11, v4
	v_and_b32_e32 v42, 0xffff, v42
	v_sub_nc_u16 v4, v23, v5
	s_delay_alu instid0(VALU_DEP_3) | instskip(SKIP_1) | instid1(VALU_DEP_4)
	v_mul_lo_u16 v5, v43, 22
	v_and_b32_e32 v43, 0xffff, v43
	v_mad_u32_u24 v42, 0x134, v42, 0
	s_delay_alu instid0(VALU_DEP_4) | instskip(NEXT) | instid1(VALU_DEP_4)
	v_and_b32_e32 v44, 0xff, v4
	v_sub_nc_u16 v4, v30, v5
	s_delay_alu instid0(VALU_DEP_4) | instskip(NEXT) | instid1(VALU_DEP_3)
	v_mad_u32_u24 v43, 0x134, v43, 0
	v_mul_u32_u24_e32 v5, 6, v44
	s_delay_alu instid0(VALU_DEP_3) | instskip(SKIP_1) | instid1(VALU_DEP_3)
	v_and_b32_e32 v45, 0xff, v4
	v_lshlrev_b32_e32 v44, 1, v44
	v_lshlrev_b32_e32 v8, 2, v5
	s_delay_alu instid0(VALU_DEP_3) | instskip(SKIP_1) | instid1(VALU_DEP_4)
	v_mul_u32_u24_e32 v9, 6, v45
	v_lshlrev_b32_e32 v45, 1, v45
	v_add3_u32 v42, v42, v44, v33
	global_load_b128 v[4:7], v8, s[4:5] offset:80
	v_lshlrev_b32_e32 v37, 2, v9
	v_add3_u32 v33, v43, v45, v33
	s_clause 0x2
	global_load_b64 v[18:19], v8, s[4:5] offset:96
	global_load_b128 v[8:11], v37, s[4:5] offset:80
	global_load_b64 v[37:38], v37, s[4:5] offset:96
	ds_load_u16 v46, v32 offset:1848
	ds_load_u16 v47, v0
	ds_load_u16 v49, v1
	ds_load_u16 v51, v2
	ds_load_u16 v52, v31
	ds_load_u16 v53, v32 offset:462
	ds_load_u16 v54, v32 offset:770
	;; [unrolled: 1-line block ×7, first 2 shown]
	ds_load_u16 v60, v3
	ds_load_u16 v61, v32 offset:2002
	global_wb scope:SCOPE_SE
	s_wait_loadcnt_dscnt 0x0
	s_barrier_signal -1
	s_barrier_wait -1
	global_inv scope:SCOPE_SE
	v_lshrrev_b32_e32 v43, 16, v4
	v_lshrrev_b32_e32 v44, 16, v5
	;; [unrolled: 1-line block ×12, first 2 shown]
	v_mul_f16_e32 v71, v60, v43
	v_mul_f16_e32 v43, v50, v43
	;; [unrolled: 1-line block ×24, first 2 shown]
	v_fmac_f16_e32 v71, v50, v4
	v_fma_f16 v4, v60, v4, -v43
	v_fmac_f16_e32 v72, v40, v5
	v_fmac_f16_e32 v75, v41, v18
	;; [unrolled: 1-line block ×3, first 2 shown]
	v_fma_f16 v15, v46, v19, -v64
	v_fma_f16 v5, v47, v5, -v44
	v_fmac_f16_e32 v73, v39, v6
	v_fma_f16 v6, v49, v6, -v45
	v_fmac_f16_e32 v74, v48, v7
	v_fma_f16 v7, v58, v7, -v62
	v_fma_f16 v18, v56, v18, -v63
	v_fmac_f16_e32 v77, v21, v8
	v_fma_f16 v8, v53, v8, -v65
	v_fmac_f16_e32 v78, v20, v9
	;; [unrolled: 2-line block ×6, first 2 shown]
	v_fma_f16 v11, v57, v11, -v68
	v_add_f16_e32 v20, v71, v76
	v_add_f16_e32 v21, v4, v15
	v_sub_f16_e32 v4, v4, v15
	v_add_f16_e32 v15, v72, v75
	v_add_f16_e32 v35, v5, v18
	v_sub_f16_e32 v36, v72, v75
	v_sub_f16_e32 v5, v5, v18
	v_add_f16_e32 v18, v73, v74
	v_add_f16_e32 v37, v6, v7
	v_sub_f16_e32 v38, v74, v73
	v_sub_f16_e32 v6, v7, v6
	v_add_f16_e32 v7, v77, v82
	v_add_f16_e32 v39, v8, v19
	v_sub_f16_e32 v8, v8, v19
	v_add_f16_e32 v19, v78, v81
	v_add_f16_e32 v41, v9, v14
	v_sub_f16_e32 v9, v9, v14
	v_add_f16_e32 v44, v10, v11
	v_sub_f16_e32 v10, v11, v10
	;; [unrolled: 2-line block ×3, first 2 shown]
	v_sub_f16_e32 v40, v77, v82
	v_sub_f16_e32 v43, v78, v81
	v_add_f16_e32 v14, v79, v80
	v_sub_f16_e32 v45, v80, v79
	v_add_f16_e32 v46, v35, v21
	v_sub_f16_e32 v47, v15, v20
	v_sub_f16_e32 v48, v35, v21
	;; [unrolled: 1-line block ×6, first 2 shown]
	v_add_f16_e32 v49, v38, v36
	v_add_f16_e32 v50, v6, v5
	v_sub_f16_e32 v53, v38, v36
	v_sub_f16_e32 v54, v6, v5
	;; [unrolled: 1-line block ×3, first 2 shown]
	v_add_f16_e32 v55, v19, v7
	v_add_f16_e32 v56, v41, v39
	;; [unrolled: 1-line block ×3, first 2 shown]
	v_sub_f16_e32 v62, v10, v9
	v_sub_f16_e32 v9, v9, v8
	v_add_f16_e32 v11, v18, v11
	v_sub_f16_e32 v36, v36, v34
	v_sub_f16_e32 v38, v34, v38
	;; [unrolled: 1-line block ×9, first 2 shown]
	v_add_f16_e32 v59, v45, v43
	v_sub_f16_e32 v61, v45, v43
	v_sub_f16_e32 v43, v43, v40
	v_add_f16_e32 v18, v37, v46
	v_add_f16_e32 v34, v49, v34
	;; [unrolled: 1-line block ×3, first 2 shown]
	v_mul_f16_e32 v20, 0x3a52, v20
	v_mul_f16_e32 v21, 0x3a52, v21
	;; [unrolled: 1-line block ×7, first 2 shown]
	v_add_f16_e32 v14, v14, v55
	v_add_f16_e32 v44, v44, v56
	v_sub_f16_e32 v10, v8, v10
	v_add_f16_e32 v8, v60, v8
	v_mul_f16_e32 v60, 0x3846, v62
	v_mul_f16_e32 v62, 0xbb00, v9
	v_add_f16_e32 v13, v13, v11
	v_mul_f16_e32 v53, 0xbb00, v36
	v_sub_f16_e32 v45, v40, v45
	v_add_f16_e32 v40, v59, v40
	v_mul_f16_e32 v7, 0x3a52, v7
	v_mul_f16_e32 v39, 0x3a52, v39
	;; [unrolled: 1-line block ×6, first 2 shown]
	v_add_f16_e32 v52, v52, v18
	v_fmamk_f16 v15, v15, 0x2b26, v20
	v_fmamk_f16 v35, v35, 0x2b26, v21
	v_fma_f16 v37, v47, 0x39e0, -v37
	v_fma_f16 v46, v48, 0x39e0, -v46
	v_fma_f16 v20, v47, 0xb9e0, -v20
	v_fma_f16 v21, v48, 0xb9e0, -v21
	v_fmamk_f16 v47, v38, 0xb574, v49
	v_fmamk_f16 v48, v6, 0xb574, v50
	v_fma_f16 v36, v36, 0xbb00, -v49
	v_fma_f16 v5, v5, 0xbb00, -v50
	;; [unrolled: 1-line block ×3, first 2 shown]
	v_add_f16_e32 v12, v12, v14
	v_add_f16_e32 v49, v51, v44
	v_fmamk_f16 v54, v10, 0xb574, v60
	v_fma_f16 v9, v9, 0xbb00, -v60
	v_fma_f16 v10, v10, 0x3574, -v62
	v_fmamk_f16 v11, v11, 0xbcab, v13
	v_fma_f16 v38, v38, 0x3574, -v53
	v_fmamk_f16 v19, v19, 0x2b26, v7
	v_fmamk_f16 v41, v41, 0x2b26, v39
	v_fma_f16 v50, v57, 0x39e0, -v55
	v_fma_f16 v51, v58, 0x39e0, -v56
	;; [unrolled: 1-line block ×4, first 2 shown]
	v_fmamk_f16 v53, v45, 0xb574, v59
	v_fma_f16 v43, v43, 0xbb00, -v59
	v_fma_f16 v45, v45, 0x3574, -v61
	v_fmamk_f16 v18, v18, 0xbcab, v52
	v_fmac_f16_e32 v48, 0xb70e, v4
	v_fmac_f16_e32 v5, 0xb70e, v4
	v_fmac_f16_e32 v6, 0xb70e, v4
	v_fmamk_f16 v4, v14, 0xbcab, v12
	v_fmamk_f16 v14, v44, 0xbcab, v49
	v_fmac_f16_e32 v54, 0xb70e, v8
	v_fmac_f16_e32 v9, 0xb70e, v8
	v_fmac_f16_e32 v10, 0xb70e, v8
	v_add_f16_e32 v8, v15, v11
	v_fmac_f16_e32 v47, 0xb70e, v34
	v_fmac_f16_e32 v36, 0xb70e, v34
	;; [unrolled: 1-line block ×3, first 2 shown]
	v_add_f16_e32 v34, v37, v11
	v_add_f16_e32 v11, v20, v11
	v_fmac_f16_e32 v43, 0xb70e, v40
	v_fmac_f16_e32 v45, 0xb70e, v40
	v_add_f16_e32 v15, v35, v18
	v_add_f16_e32 v35, v46, v18
	;; [unrolled: 1-line block ×10, first 2 shown]
	v_fmac_f16_e32 v53, 0xb70e, v40
	v_add_f16_e32 v40, v6, v11
	v_sub_f16_e32 v44, v34, v5
	v_sub_f16_e32 v39, v15, v47
	v_sub_f16_e32 v41, v18, v38
	v_add_f16_e32 v46, v36, v35
	v_add_f16_e32 v5, v5, v34
	v_sub_f16_e32 v34, v35, v36
	v_sub_f16_e32 v6, v11, v6
	v_add_f16_e32 v35, v38, v18
	v_sub_f16_e32 v8, v8, v48
	v_add_f16_e32 v36, v47, v15
	v_add_f16_e32 v11, v54, v19
	;; [unrolled: 1-line block ×3, first 2 shown]
	v_sub_f16_e32 v47, v7, v45
	v_sub_f16_e32 v18, v21, v9
	v_add_f16_e32 v48, v43, v37
	v_add_f16_e32 v9, v9, v21
	v_sub_f16_e32 v21, v37, v43
	v_sub_f16_e32 v4, v4, v10
	v_add_f16_e32 v37, v45, v7
	v_sub_f16_e32 v7, v19, v54
	ds_store_b16 v42, v13
	ds_store_b16 v42, v14 offset:44
	ds_store_b16 v42, v40 offset:88
	;; [unrolled: 1-line block ×6, first 2 shown]
	ds_store_b16 v33, v12
	ds_store_b16 v33, v11 offset:44
	ds_store_b16 v33, v15 offset:88
	;; [unrolled: 1-line block ×6, first 2 shown]
	global_wb scope:SCOPE_SE
	s_wait_dscnt 0x0
	s_barrier_signal -1
	s_barrier_wait -1
	global_inv scope:SCOPE_SE
	ds_load_u16 v14, v32 offset:1848
	ds_load_u16 v12, v0
	ds_load_u16 v13, v1
	;; [unrolled: 1-line block ×4, first 2 shown]
	ds_load_u16 v7, v32 offset:462
	ds_load_u16 v6, v32 offset:770
	;; [unrolled: 1-line block ×7, first 2 shown]
	ds_load_u16 v19, v3
	ds_load_u16 v11, v32 offset:2002
	v_sub_f16_e32 v38, v20, v53
	v_add_f16_e32 v20, v53, v20
	global_wb scope:SCOPE_SE
	s_wait_dscnt 0x0
	s_barrier_signal -1
	s_barrier_wait -1
	global_inv scope:SCOPE_SE
	ds_store_b16 v42, v52
	ds_store_b16 v42, v39 offset:44
	ds_store_b16 v42, v41 offset:88
	;; [unrolled: 1-line block ×6, first 2 shown]
	ds_store_b16 v33, v49
	ds_store_b16 v33, v38 offset:44
	ds_store_b16 v33, v47 offset:88
	;; [unrolled: 1-line block ×6, first 2 shown]
	global_wb scope:SCOPE_SE
	s_wait_dscnt 0x0
	s_barrier_signal -1
	s_barrier_wait -1
	global_inv scope:SCOPE_SE
	s_and_saveexec_b32 s0, vcc_lo
	s_cbranch_execz .LBB0_22
; %bb.21:
	v_mul_u32_u24_e32 v20, 6, v23
	v_mad_co_u64_u32 v[43:44], null, s8, v29, 0
	v_mad_co_u64_u32 v[45:46], null, s8, v27, 0
	s_delay_alu instid0(VALU_DEP_3)
	v_lshlrev_b32_e32 v21, 2, v20
	v_mul_i32_i24_e32 v20, 6, v30
	v_mul_hi_u32 v49, 0x3531dec1, v22
	v_mad_co_u64_u32 v[47:48], null, s8, v28, 0
	s_clause 0x1
	global_load_b128 v[33:36], v21, s[4:5] offset:608
	global_load_b64 v[41:42], v21, s[4:5] offset:624
	v_mov_b32_e32 v21, 0
	v_lshrrev_b32_e32 v51, 5, v49
	s_delay_alu instid0(VALU_DEP_2) | instskip(NEXT) | instid1(VALU_DEP_1)
	v_lshlrev_b64_e32 v[20:21], 2, v[20:21]
	v_add_co_u32 v20, vcc_lo, s4, v20
	s_wait_alu 0xfffd
	s_delay_alu instid0(VALU_DEP_2)
	v_add_co_ci_u32_e32 v21, vcc_lo, s5, v21, vcc_lo
	v_add_co_u32 v68, vcc_lo, s10, v16
	s_clause 0x1
	global_load_b128 v[37:40], v[20:21], off offset:608
	global_load_b64 v[20:21], v[20:21], off offset:624
	ds_load_u16 v54, v32 offset:1694
	ds_load_u16 v55, v32 offset:1540
	;; [unrolled: 1-line block ×6, first 2 shown]
	ds_load_u16 v60, v3
	ds_load_u16 v61, v2
	;; [unrolled: 1-line block ×4, first 2 shown]
	ds_load_u16 v64, v32 offset:2002
	ds_load_u16 v65, v32 offset:1848
	ds_load_u16 v66, v32 offset:462
	ds_load_u16 v67, v31
	v_mad_co_u64_u32 v[0:1], null, s8, v23, 0
	v_mad_co_u64_u32 v[2:3], null, s8, v24, 0
	s_wait_alu 0xfffd
	v_add_co_ci_u32_e32 v69, vcc_lo, s11, v17, vcc_lo
	v_mad_co_u64_u32 v[16:17], null, s8, v25, 0
	v_mad_co_u64_u32 v[30:31], null, s8, v26, 0
	v_mov_b32_e32 v32, v44
	v_mov_b32_e32 v44, v46
	;; [unrolled: 1-line block ×3, first 2 shown]
	v_mad_co_u64_u32 v[48:49], null, s9, v23, v[1:2]
	v_mad_co_u64_u32 v[23:24], null, s9, v24, v[3:4]
	;; [unrolled: 1-line block ×5, first 2 shown]
	v_mov_b32_e32 v1, v48
	v_mov_b32_e32 v3, v23
	s_delay_alu instid0(VALU_DEP_2) | instskip(NEXT) | instid1(VALU_DEP_2)
	v_lshlrev_b64_e32 v[0:1], 2, v[0:1]
	v_lshlrev_b64_e32 v[2:3], 2, v[2:3]
	s_delay_alu instid0(VALU_DEP_2) | instskip(SKIP_1) | instid1(VALU_DEP_3)
	v_add_co_u32 v0, vcc_lo, v68, v0
	s_wait_alu 0xfffd
	v_add_co_ci_u32_e32 v1, vcc_lo, v69, v1, vcc_lo
	s_delay_alu instid0(VALU_DEP_3)
	v_add_co_u32 v2, vcc_lo, v68, v2
	s_wait_alu 0xfffd
	v_add_co_ci_u32_e32 v3, vcc_lo, v69, v3, vcc_lo
	s_wait_loadcnt 0x3
	v_mad_co_u64_u32 v[49:50], null, s9, v29, v[32:33]
	v_mad_u32_u24 v32, 0x39c, v51, v22
	s_wait_loadcnt 0x2
	v_lshrrev_b32_e32 v74, 16, v41
	v_lshrrev_b32_e32 v75, 16, v42
	v_mul_f16_e32 v76, v14, v42
	v_mul_f16_e32 v77, v18, v36
	v_add_nc_u32_e32 v53, 0x9a, v32
	v_add_nc_u32_e32 v72, 0x268, v32
	;; [unrolled: 1-line block ×3, first 2 shown]
	v_dual_mov_b32 v44, v49 :: v_dual_add_nc_u32 v71, 0x1ce, v32
	v_mad_co_u64_u32 v[27:28], null, s9, v28, v[46:47]
	s_delay_alu instid0(VALU_DEP_4) | instskip(SKIP_2) | instid1(VALU_DEP_4)
	v_mad_co_u64_u32 v[49:50], null, s8, v72, 0
	v_mov_b32_e32 v31, v25
	v_mad_co_u64_u32 v[28:29], null, s8, v32, 0
	v_dual_mov_b32 v17, v24 :: v_dual_mov_b32 v48, v27
	s_delay_alu instid0(VALU_DEP_3) | instskip(SKIP_1) | instid1(VALU_DEP_3)
	v_lshlrev_b64_e32 v[30:31], 2, v[30:31]
	v_dual_mov_b32 v46, v26 :: v_dual_add_nc_u32 v73, 0x302, v32
	v_lshlrev_b64_e32 v[16:17], 2, v[16:17]
	v_mad_co_u64_u32 v[22:23], null, s8, v53, 0
	s_delay_alu instid0(VALU_DEP_4)
	v_mad_co_u64_u32 v[51:52], null, s9, v32, v[29:30]
	v_mad_co_u64_u32 v[24:25], null, s8, v70, 0
	v_lshlrev_b64_e32 v[43:44], 2, v[43:44]
	v_add_co_u32 v16, vcc_lo, v68, v16
	s_wait_alu 0xfffd
	v_add_co_ci_u32_e32 v17, vcc_lo, v69, v17, vcc_lo
	v_lshlrev_b64_e32 v[45:46], 2, v[45:46]
	v_add_co_u32 v30, vcc_lo, v68, v30
	v_mov_b32_e32 v29, v51
	s_wait_alu 0xfffd
	v_add_co_ci_u32_e32 v31, vcc_lo, v69, v31, vcc_lo
	v_mad_co_u64_u32 v[26:27], null, s8, v71, 0
	v_lshlrev_b64_e32 v[47:48], 2, v[47:48]
	v_add_co_u32 v43, vcc_lo, v68, v43
	v_mad_co_u64_u32 v[52:53], null, s9, v53, v[23:24]
	s_wait_alu 0xfffd
	v_add_co_ci_u32_e32 v44, vcc_lo, v69, v44, vcc_lo
	v_add_co_u32 v45, vcc_lo, v68, v45
	v_lshlrev_b64_e32 v[28:29], 2, v[28:29]
	s_wait_alu 0xfffd
	v_add_co_ci_u32_e32 v46, vcc_lo, v69, v46, vcc_lo
	v_add_co_u32 v47, vcc_lo, v68, v47
	s_wait_alu 0xfffd
	v_add_co_ci_u32_e32 v48, vcc_lo, v69, v48, vcc_lo
	v_mov_b32_e32 v23, v52
	v_mad_co_u64_u32 v[51:52], null, s9, v70, v[25:26]
	v_mad_co_u64_u32 v[52:53], null, s9, v71, v[27:28]
	v_add_co_u32 v27, vcc_lo, v68, v28
	s_wait_alu 0xfffd
	v_add_co_ci_u32_e32 v28, vcc_lo, v69, v29, vcc_lo
	v_lshrrev_b32_e32 v25, 16, v33
	v_lshrrev_b32_e32 v29, 16, v34
	;; [unrolled: 1-line block ×4, first 2 shown]
	v_mul_f16_e32 v71, v19, v33
	v_mul_f16_e32 v78, v13, v35
	v_mul_f16_e32 v79, v12, v34
	v_mul_f16_e32 v80, v15, v41
	s_wait_dscnt 0x2
	v_fmac_f16_e32 v76, v65, v75
	v_fmac_f16_e32 v71, v60, v25
	;; [unrolled: 1-line block ×6, first 2 shown]
	v_mul_f16_e32 v14, v14, v75
	v_mul_f16_e32 v19, v19, v25
	;; [unrolled: 1-line block ×6, first 2 shown]
	s_wait_loadcnt 0x1
	v_lshrrev_b32_e32 v25, 16, v37
	v_lshrrev_b32_e32 v29, 16, v38
	;; [unrolled: 1-line block ×4, first 2 shown]
	s_wait_loadcnt 0x0
	v_lshrrev_b32_e32 v75, 16, v20
	v_lshrrev_b32_e32 v81, 16, v21
	v_mul_f16_e32 v74, v7, v37
	v_mul_f16_e32 v82, v11, v21
	;; [unrolled: 1-line block ×6, first 2 shown]
	v_sub_f16_e32 v87, v71, v76
	v_sub_f16_e32 v88, v77, v78
	;; [unrolled: 1-line block ×3, first 2 shown]
	v_fma_f16 v14, v65, v42, -v14
	v_fma_f16 v19, v60, v33, -v19
	;; [unrolled: 1-line block ×6, first 2 shown]
	v_add_f16_e32 v33, v71, v76
	v_add_f16_e32 v34, v77, v78
	;; [unrolled: 1-line block ×3, first 2 shown]
	v_mul_f16_e32 v11, v11, v81
	v_mul_f16_e32 v7, v7, v25
	;; [unrolled: 1-line block ×6, first 2 shown]
	s_wait_dscnt 0x1
	v_fmac_f16_e32 v74, v66, v25
	v_fmac_f16_e32 v82, v64, v81
	;; [unrolled: 1-line block ×6, first 2 shown]
	v_sub_f16_e32 v29, v88, v89
	v_add_f16_e32 v41, v19, v14
	v_add_f16_e32 v42, v18, v13
	;; [unrolled: 1-line block ×3, first 2 shown]
	v_sub_f16_e32 v55, v33, v34
	v_sub_f16_e32 v57, v34, v35
	v_add_f16_e32 v60, v33, v35
	v_sub_f16_e32 v14, v19, v14
	v_sub_f16_e32 v13, v18, v13
	;; [unrolled: 1-line block ×4, first 2 shown]
	v_fma_f16 v11, v64, v21, -v11
	v_fma_f16 v7, v66, v37, -v7
	;; [unrolled: 1-line block ×6, first 2 shown]
	v_sub_f16_e32 v25, v87, v88
	v_sub_f16_e32 v18, v35, v33
	;; [unrolled: 1-line block ×5, first 2 shown]
	v_add_f16_e32 v20, v74, v82
	v_add_f16_e32 v21, v83, v84
	;; [unrolled: 1-line block ×3, first 2 shown]
	v_mul_f16_e32 v29, 0x3846, v29
	v_sub_f16_e32 v38, v41, v42
	v_sub_f16_e32 v39, v42, v53
	v_add_f16_e32 v40, v41, v53
	v_mul_f16_e32 v54, 0x3a52, v55
	v_mul_f16_e32 v56, 0x2b26, v57
	v_add_f16_e32 v34, v34, v60
	v_sub_f16_e32 v57, v14, v13
	v_sub_f16_e32 v58, v13, v12
	v_add_f16_e32 v13, v13, v12
	v_mul_f16_e32 v59, 0xbb00, v15
	v_sub_f16_e32 v12, v12, v14
	v_add_f16_e32 v62, v7, v11
	v_add_f16_e32 v63, v9, v10
	;; [unrolled: 1-line block ×4, first 2 shown]
	v_sub_f16_e32 v41, v53, v41
	v_sub_f16_e32 v53, v19, v33
	;; [unrolled: 1-line block ×3, first 2 shown]
	v_add_f16_e32 v33, v33, v35
	v_sub_f16_e32 v65, v20, v21
	v_sub_f16_e32 v66, v21, v37
	v_add_f16_e32 v70, v20, v37
	v_sub_f16_e32 v7, v7, v11
	v_sub_f16_e32 v9, v9, v10
	;; [unrolled: 1-line block ×5, first 2 shown]
	v_fmamk_f16 v11, v25, 0xb574, v29
	v_mul_f16_e32 v20, 0x3a52, v38
	v_mul_f16_e32 v35, 0x2b26, v39
	v_add_f16_e32 v37, v42, v40
	v_fmamk_f16 v39, v55, 0x3a52, v56
	v_add_f16_e32 v5, v5, v34
	v_mul_f16_e32 v40, 0x3846, v58
	v_add_f16_e32 v13, v14, v13
	v_fma_f16 v14, v25, 0x3574, -v59
	v_fma_f16 v25, v18, 0xb9e0, -v54
	v_mul_f16_e32 v42, 0xbb00, v12
	v_sub_f16_e32 v54, v63, v64
	v_add_f16_e32 v55, v62, v64
	v_add_f16_e32 v36, v87, v36
	v_fma_f16 v15, v15, 0xbb00, -v29
	v_fma_f16 v18, v18, 0x39e0, -v56
	v_mul_f16_e32 v29, 0x3846, v60
	v_add_f16_e32 v19, v19, v33
	v_sub_f16_e32 v33, v62, v63
	v_mul_f16_e32 v56, 0x3a52, v65
	v_mul_f16_e32 v58, 0x2b26, v66
	v_add_f16_e32 v21, v21, v70
	v_sub_f16_e32 v59, v7, v9
	v_sub_f16_e32 v60, v9, v6
	v_add_f16_e32 v9, v9, v6
	v_mul_f16_e32 v66, 0xbb00, v8
	v_sub_f16_e32 v62, v64, v62
	v_sub_f16_e32 v6, v6, v7
	v_fmamk_f16 v38, v38, 0x3a52, v35
	s_wait_dscnt 0x0
	v_add_f16_e32 v64, v67, v37
	v_fmamk_f16 v34, v34, 0xbcab, v5
	v_fmamk_f16 v67, v57, 0xb574, v40
	v_fma_f16 v20, v41, 0xb9e0, -v20
	v_fma_f16 v42, v57, 0x3574, -v42
	;; [unrolled: 1-line block ×4, first 2 shown]
	v_mul_f16_e32 v41, 0x2b26, v54
	v_add_f16_e32 v54, v63, v55
	v_fmac_f16_e32 v11, 0xb70e, v36
	v_fmac_f16_e32 v14, 0xb70e, v36
	;; [unrolled: 1-line block ×3, first 2 shown]
	v_fmamk_f16 v36, v53, 0xb574, v29
	v_mul_f16_e32 v40, 0x3a52, v33
	v_add_f16_e32 v4, v4, v21
	v_mul_f16_e32 v57, 0x3846, v60
	v_add_f16_e32 v7, v7, v9
	v_fma_f16 v9, v53, 0x3574, -v66
	v_fma_f16 v53, v10, 0xb9e0, -v56
	v_mul_f16_e32 v56, 0xbb00, v6
	v_fma_f16 v8, v8, 0xbb00, -v29
	v_fmamk_f16 v29, v37, 0xbcab, v64
	v_fmac_f16_e32 v67, 0xb70e, v13
	v_fmac_f16_e32 v42, 0xb70e, v13
	;; [unrolled: 1-line block ×3, first 2 shown]
	v_add_f16_e32 v13, v18, v34
	v_pack_b32_f16 v5, v5, v64
	v_fmamk_f16 v18, v33, 0x3a52, v41
	v_add_f16_e32 v33, v61, v54
	v_fmamk_f16 v55, v65, 0x3a52, v58
	v_fma_f16 v10, v10, 0x39e0, -v58
	v_add_f16_e32 v37, v39, v34
	v_add_f16_e32 v25, v25, v34
	v_fmac_f16_e32 v36, 0xb70e, v19
	v_fmamk_f16 v21, v21, 0xbcab, v4
	v_fmamk_f16 v34, v59, 0xb574, v57
	v_fmac_f16_e32 v9, 0xb70e, v19
	v_fma_f16 v39, v62, 0xb9e0, -v40
	v_fma_f16 v40, v59, 0x3574, -v56
	v_fma_f16 v41, v62, 0x39e0, -v41
	v_fmac_f16_e32 v8, 0xb70e, v19
	v_fma_f16 v6, v6, 0xbb00, -v57
	v_add_f16_e32 v19, v38, v29
	v_add_f16_e32 v20, v20, v29
	;; [unrolled: 1-line block ×3, first 2 shown]
	global_store_b32 v[0:1], v5, off
	v_fmamk_f16 v0, v54, 0xbcab, v33
	v_sub_f16_e32 v56, v25, v42
	v_add_f16_e32 v35, v12, v13
	v_sub_f16_e32 v12, v13, v12
	v_add_f16_e32 v13, v42, v25
	v_add_f16_e32 v25, v67, v37
	;; [unrolled: 1-line block ×3, first 2 shown]
	v_fmac_f16_e32 v34, 0xb70e, v7
	v_add_f16_e32 v5, v53, v21
	v_fmac_f16_e32 v40, 0xb70e, v7
	v_fmac_f16_e32 v6, 0xb70e, v7
	v_add_f16_e32 v7, v10, v21
	v_pack_b32_f16 v4, v4, v33
	v_add_f16_e32 v10, v11, v19
	v_add_f16_e32 v21, v14, v20
	v_sub_f16_e32 v33, v29, v15
	v_add_f16_e32 v15, v15, v29
	v_sub_f16_e32 v14, v20, v14
	v_sub_f16_e32 v11, v19, v11
	v_add_f16_e32 v18, v18, v0
	v_add_f16_e32 v20, v39, v0
	;; [unrolled: 1-line block ×3, first 2 shown]
	v_sub_f16_e32 v38, v37, v67
	v_sub_f16_e32 v19, v1, v34
	;; [unrolled: 1-line block ×3, first 2 shown]
	v_add_f16_e32 v37, v6, v7
	v_sub_f16_e32 v39, v7, v6
	v_add_f16_e32 v40, v40, v5
	v_add_f16_e32 v1, v34, v1
	v_pack_b32_f16 v5, v25, v11
	v_pack_b32_f16 v7, v12, v15
	;; [unrolled: 1-line block ×4, first 2 shown]
	v_sub_f16_e32 v21, v0, v8
	v_add_f16_e32 v33, v8, v0
	v_sub_f16_e32 v0, v18, v36
	v_pack_b32_f16 v6, v13, v14
	v_pack_b32_f16 v10, v38, v10
	s_clause 0x6
	global_store_b32 v[2:3], v5, off
	global_store_b32 v[16:17], v6, off
	;; [unrolled: 1-line block ×7, first 2 shown]
	v_pack_b32_f16 v5, v1, v0
	v_mad_co_u64_u32 v[1:2], null, s8, v73, 0
	v_dual_mov_b32 v0, v50 :: v_dual_add_nc_u32 v11, 0x39c, v32
	v_sub_f16_e32 v8, v20, v9
	v_mov_b32_e32 v27, v52
	v_add_f16_e32 v15, v9, v20
	v_add_f16_e32 v14, v36, v18
	v_mad_co_u64_u32 v[3:4], null, s9, v72, v[0:1]
	v_mad_co_u64_u32 v[6:7], null, s8, v11, 0
	v_dual_mov_b32 v0, v2 :: v_dual_mov_b32 v25, v51
	v_pack_b32_f16 v16, v40, v8
	v_pack_b32_f16 v17, v39, v33
	v_mov_b32_e32 v50, v3
	v_lshlrev_b64_e32 v[22:23], 2, v[22:23]
	v_mad_co_u64_u32 v[2:3], null, s9, v73, v[0:1]
	v_mov_b32_e32 v0, v7
	v_lshlrev_b64_e32 v[7:8], 2, v[26:27]
	v_lshlrev_b64_e32 v[9:10], 2, v[49:50]
	v_add_co_u32 v22, vcc_lo, v68, v22
	s_wait_alu 0xfffd
	v_add_co_ci_u32_e32 v23, vcc_lo, v69, v23, vcc_lo
	v_mad_co_u64_u32 v[11:12], null, s9, v11, v[0:1]
	v_lshlrev_b64_e32 v[0:1], 2, v[1:2]
	global_store_b32 v[22:23], v5, off
	v_lshlrev_b64_e32 v[4:5], 2, v[24:25]
	v_pack_b32_f16 v2, v37, v21
	s_delay_alu instid0(VALU_DEP_2) | instskip(SKIP_1) | instid1(VALU_DEP_3)
	v_add_co_u32 v3, vcc_lo, v68, v4
	s_wait_alu 0xfffd
	v_add_co_ci_u32_e32 v4, vcc_lo, v69, v5, vcc_lo
	v_add_co_u32 v12, vcc_lo, v68, v7
	v_mov_b32_e32 v7, v11
	s_wait_alu 0xfffd
	v_add_co_ci_u32_e32 v13, vcc_lo, v69, v8, vcc_lo
	v_add_co_u32 v8, vcc_lo, v68, v9
	s_delay_alu instid0(VALU_DEP_3)
	v_lshlrev_b64_e32 v[5:6], 2, v[6:7]
	s_wait_alu 0xfffd
	v_add_co_ci_u32_e32 v9, vcc_lo, v69, v10, vcc_lo
	v_add_co_u32 v0, vcc_lo, v68, v0
	s_wait_alu 0xfffd
	v_add_co_ci_u32_e32 v1, vcc_lo, v69, v1, vcc_lo
	v_add_co_u32 v5, vcc_lo, v68, v5
	v_pack_b32_f16 v7, v29, v15
	s_wait_alu 0xfffd
	v_add_co_ci_u32_e32 v6, vcc_lo, v69, v6, vcc_lo
	v_pack_b32_f16 v10, v19, v14
	s_clause 0x4
	global_store_b32 v[3:4], v16, off
	global_store_b32 v[12:13], v17, off
	;; [unrolled: 1-line block ×5, first 2 shown]
.LBB0_22:
	s_nop 0
	s_sendmsg sendmsg(MSG_DEALLOC_VGPRS)
	s_endpgm
	.section	.rodata,"a",@progbits
	.p2align	6, 0x0
	.amdhsa_kernel fft_rtc_back_len1078_factors_2_11_7_7_wgs_231_tpt_77_halfLds_half_ip_CI_sbrr_dirReg
		.amdhsa_group_segment_fixed_size 0
		.amdhsa_private_segment_fixed_size 0
		.amdhsa_kernarg_size 88
		.amdhsa_user_sgpr_count 2
		.amdhsa_user_sgpr_dispatch_ptr 0
		.amdhsa_user_sgpr_queue_ptr 0
		.amdhsa_user_sgpr_kernarg_segment_ptr 1
		.amdhsa_user_sgpr_dispatch_id 0
		.amdhsa_user_sgpr_private_segment_size 0
		.amdhsa_wavefront_size32 1
		.amdhsa_uses_dynamic_stack 0
		.amdhsa_enable_private_segment 0
		.amdhsa_system_sgpr_workgroup_id_x 1
		.amdhsa_system_sgpr_workgroup_id_y 0
		.amdhsa_system_sgpr_workgroup_id_z 0
		.amdhsa_system_sgpr_workgroup_info 0
		.amdhsa_system_vgpr_workitem_id 0
		.amdhsa_next_free_vgpr 125
		.amdhsa_next_free_sgpr 35
		.amdhsa_reserve_vcc 1
		.amdhsa_float_round_mode_32 0
		.amdhsa_float_round_mode_16_64 0
		.amdhsa_float_denorm_mode_32 3
		.amdhsa_float_denorm_mode_16_64 3
		.amdhsa_fp16_overflow 0
		.amdhsa_workgroup_processor_mode 1
		.amdhsa_memory_ordered 1
		.amdhsa_forward_progress 0
		.amdhsa_round_robin_scheduling 0
		.amdhsa_exception_fp_ieee_invalid_op 0
		.amdhsa_exception_fp_denorm_src 0
		.amdhsa_exception_fp_ieee_div_zero 0
		.amdhsa_exception_fp_ieee_overflow 0
		.amdhsa_exception_fp_ieee_underflow 0
		.amdhsa_exception_fp_ieee_inexact 0
		.amdhsa_exception_int_div_zero 0
	.end_amdhsa_kernel
	.text
.Lfunc_end0:
	.size	fft_rtc_back_len1078_factors_2_11_7_7_wgs_231_tpt_77_halfLds_half_ip_CI_sbrr_dirReg, .Lfunc_end0-fft_rtc_back_len1078_factors_2_11_7_7_wgs_231_tpt_77_halfLds_half_ip_CI_sbrr_dirReg
                                        ; -- End function
	.section	.AMDGPU.csdata,"",@progbits
; Kernel info:
; codeLenInByte = 13188
; NumSgprs: 37
; NumVgprs: 125
; ScratchSize: 0
; MemoryBound: 0
; FloatMode: 240
; IeeeMode: 1
; LDSByteSize: 0 bytes/workgroup (compile time only)
; SGPRBlocks: 4
; VGPRBlocks: 15
; NumSGPRsForWavesPerEU: 37
; NumVGPRsForWavesPerEU: 125
; Occupancy: 10
; WaveLimiterHint : 1
; COMPUTE_PGM_RSRC2:SCRATCH_EN: 0
; COMPUTE_PGM_RSRC2:USER_SGPR: 2
; COMPUTE_PGM_RSRC2:TRAP_HANDLER: 0
; COMPUTE_PGM_RSRC2:TGID_X_EN: 1
; COMPUTE_PGM_RSRC2:TGID_Y_EN: 0
; COMPUTE_PGM_RSRC2:TGID_Z_EN: 0
; COMPUTE_PGM_RSRC2:TIDIG_COMP_CNT: 0
	.text
	.p2alignl 7, 3214868480
	.fill 96, 4, 3214868480
	.type	__hip_cuid_4d152fcc2ac47779,@object ; @__hip_cuid_4d152fcc2ac47779
	.section	.bss,"aw",@nobits
	.globl	__hip_cuid_4d152fcc2ac47779
__hip_cuid_4d152fcc2ac47779:
	.byte	0                               ; 0x0
	.size	__hip_cuid_4d152fcc2ac47779, 1

	.ident	"AMD clang version 19.0.0git (https://github.com/RadeonOpenCompute/llvm-project roc-6.4.0 25133 c7fe45cf4b819c5991fe208aaa96edf142730f1d)"
	.section	".note.GNU-stack","",@progbits
	.addrsig
	.addrsig_sym __hip_cuid_4d152fcc2ac47779
	.amdgpu_metadata
---
amdhsa.kernels:
  - .args:
      - .actual_access:  read_only
        .address_space:  global
        .offset:         0
        .size:           8
        .value_kind:     global_buffer
      - .offset:         8
        .size:           8
        .value_kind:     by_value
      - .actual_access:  read_only
        .address_space:  global
        .offset:         16
        .size:           8
        .value_kind:     global_buffer
      - .actual_access:  read_only
        .address_space:  global
        .offset:         24
        .size:           8
        .value_kind:     global_buffer
      - .offset:         32
        .size:           8
        .value_kind:     by_value
      - .actual_access:  read_only
        .address_space:  global
        .offset:         40
        .size:           8
        .value_kind:     global_buffer
      - .actual_access:  read_only
        .address_space:  global
        .offset:         48
        .size:           8
        .value_kind:     global_buffer
      - .offset:         56
        .size:           4
        .value_kind:     by_value
      - .actual_access:  read_only
        .address_space:  global
        .offset:         64
        .size:           8
        .value_kind:     global_buffer
      - .actual_access:  read_only
        .address_space:  global
        .offset:         72
        .size:           8
        .value_kind:     global_buffer
      - .address_space:  global
        .offset:         80
        .size:           8
        .value_kind:     global_buffer
    .group_segment_fixed_size: 0
    .kernarg_segment_align: 8
    .kernarg_segment_size: 88
    .language:       OpenCL C
    .language_version:
      - 2
      - 0
    .max_flat_workgroup_size: 231
    .name:           fft_rtc_back_len1078_factors_2_11_7_7_wgs_231_tpt_77_halfLds_half_ip_CI_sbrr_dirReg
    .private_segment_fixed_size: 0
    .sgpr_count:     37
    .sgpr_spill_count: 0
    .symbol:         fft_rtc_back_len1078_factors_2_11_7_7_wgs_231_tpt_77_halfLds_half_ip_CI_sbrr_dirReg.kd
    .uniform_work_group_size: 1
    .uses_dynamic_stack: false
    .vgpr_count:     125
    .vgpr_spill_count: 0
    .wavefront_size: 32
    .workgroup_processor_mode: 1
amdhsa.target:   amdgcn-amd-amdhsa--gfx1201
amdhsa.version:
  - 1
  - 2
...

	.end_amdgpu_metadata
